;; amdgpu-corpus repo=ROCm/rocFFT kind=compiled arch=gfx906 opt=O3
	.text
	.amdgcn_target "amdgcn-amd-amdhsa--gfx906"
	.amdhsa_code_object_version 6
	.protected	fft_rtc_fwd_len858_factors_13_11_6_wgs_234_tpt_78_halfLds_dp_op_CI_CI_sbrr_dirReg ; -- Begin function fft_rtc_fwd_len858_factors_13_11_6_wgs_234_tpt_78_halfLds_dp_op_CI_CI_sbrr_dirReg
	.globl	fft_rtc_fwd_len858_factors_13_11_6_wgs_234_tpt_78_halfLds_dp_op_CI_CI_sbrr_dirReg
	.p2align	8
	.type	fft_rtc_fwd_len858_factors_13_11_6_wgs_234_tpt_78_halfLds_dp_op_CI_CI_sbrr_dirReg,@function
fft_rtc_fwd_len858_factors_13_11_6_wgs_234_tpt_78_halfLds_dp_op_CI_CI_sbrr_dirReg: ; @fft_rtc_fwd_len858_factors_13_11_6_wgs_234_tpt_78_halfLds_dp_op_CI_CI_sbrr_dirReg
; %bb.0:
	s_load_dwordx4 s[16:19], s[4:5], 0x18
	s_load_dwordx4 s[8:11], s[4:5], 0x0
	;; [unrolled: 1-line block ×3, first 2 shown]
	v_mul_u32_u24_e32 v1, 0x349, v0
	v_lshrrev_b32_e32 v1, 16, v1
	s_waitcnt lgkmcnt(0)
	s_load_dwordx2 s[22:23], s[16:17], 0x0
	s_load_dwordx2 s[20:21], s[18:19], 0x0
	v_mad_u64_u32 v[1:2], s[0:1], s6, 3, v[1:2]
	v_mov_b32_e32 v5, 0
	v_mov_b32_e32 v3, 0
	;; [unrolled: 1-line block ×3, first 2 shown]
	v_cmp_lt_u64_e64 s[0:1], s[10:11], 2
	v_mov_b32_e32 v4, 0
	v_mov_b32_e32 v75, v4
	;; [unrolled: 1-line block ×3, first 2 shown]
	s_and_b64 vcc, exec, s[0:1]
	v_mov_b32_e32 v74, v3
	v_mov_b32_e32 v76, v1
	s_cbranch_vccnz .LBB0_8
; %bb.1:
	s_load_dwordx2 s[0:1], s[4:5], 0x10
	s_add_u32 s2, s18, 8
	s_addc_u32 s3, s19, 0
	s_add_u32 s6, s16, 8
	v_mov_b32_e32 v3, 0
	s_addc_u32 s7, s17, 0
	v_mov_b32_e32 v4, 0
	s_waitcnt lgkmcnt(0)
	s_add_u32 s24, s0, 8
	v_mov_b32_e32 v75, v4
	v_mov_b32_e32 v8, v2
	s_addc_u32 s25, s1, 0
	s_mov_b64 s[26:27], 1
	v_mov_b32_e32 v74, v3
	v_mov_b32_e32 v7, v1
.LBB0_2:                                ; =>This Inner Loop Header: Depth=1
	s_load_dwordx2 s[28:29], s[24:25], 0x0
                                        ; implicit-def: $vgpr76_vgpr77
	s_waitcnt lgkmcnt(0)
	v_or_b32_e32 v6, s29, v8
	v_cmp_ne_u64_e32 vcc, 0, v[5:6]
	s_and_saveexec_b64 s[0:1], vcc
	s_xor_b64 s[30:31], exec, s[0:1]
	s_cbranch_execz .LBB0_4
; %bb.3:                                ;   in Loop: Header=BB0_2 Depth=1
	v_cvt_f32_u32_e32 v2, s28
	v_cvt_f32_u32_e32 v6, s29
	s_sub_u32 s0, 0, s28
	s_subb_u32 s1, 0, s29
	v_mac_f32_e32 v2, 0x4f800000, v6
	v_rcp_f32_e32 v2, v2
	v_mul_f32_e32 v2, 0x5f7ffffc, v2
	v_mul_f32_e32 v6, 0x2f800000, v2
	v_trunc_f32_e32 v6, v6
	v_mac_f32_e32 v2, 0xcf800000, v6
	v_cvt_u32_f32_e32 v6, v6
	v_cvt_u32_f32_e32 v2, v2
	v_mul_lo_u32 v9, s0, v6
	v_mul_hi_u32 v10, s0, v2
	v_mul_lo_u32 v12, s1, v2
	v_mul_lo_u32 v11, s0, v2
	v_add_u32_e32 v9, v10, v9
	v_add_u32_e32 v9, v9, v12
	v_mul_hi_u32 v10, v2, v11
	v_mul_lo_u32 v12, v2, v9
	v_mul_hi_u32 v14, v2, v9
	v_mul_hi_u32 v13, v6, v11
	v_mul_lo_u32 v11, v6, v11
	v_mul_hi_u32 v15, v6, v9
	v_add_co_u32_e32 v10, vcc, v10, v12
	v_addc_co_u32_e32 v12, vcc, 0, v14, vcc
	v_mul_lo_u32 v9, v6, v9
	v_add_co_u32_e32 v10, vcc, v10, v11
	v_addc_co_u32_e32 v10, vcc, v12, v13, vcc
	v_addc_co_u32_e32 v11, vcc, 0, v15, vcc
	v_add_co_u32_e32 v9, vcc, v10, v9
	v_addc_co_u32_e32 v10, vcc, 0, v11, vcc
	v_add_co_u32_e32 v2, vcc, v2, v9
	v_addc_co_u32_e32 v6, vcc, v6, v10, vcc
	v_mul_lo_u32 v9, s0, v6
	v_mul_hi_u32 v10, s0, v2
	v_mul_lo_u32 v11, s1, v2
	v_mul_lo_u32 v12, s0, v2
	v_add_u32_e32 v9, v10, v9
	v_add_u32_e32 v9, v9, v11
	v_mul_lo_u32 v13, v2, v9
	v_mul_hi_u32 v14, v2, v12
	v_mul_hi_u32 v15, v2, v9
	;; [unrolled: 1-line block ×3, first 2 shown]
	v_mul_lo_u32 v12, v6, v12
	v_mul_hi_u32 v10, v6, v9
	v_add_co_u32_e32 v13, vcc, v14, v13
	v_addc_co_u32_e32 v14, vcc, 0, v15, vcc
	v_mul_lo_u32 v9, v6, v9
	v_add_co_u32_e32 v12, vcc, v13, v12
	v_addc_co_u32_e32 v11, vcc, v14, v11, vcc
	v_addc_co_u32_e32 v10, vcc, 0, v10, vcc
	v_add_co_u32_e32 v9, vcc, v11, v9
	v_addc_co_u32_e32 v10, vcc, 0, v10, vcc
	v_add_co_u32_e32 v2, vcc, v2, v9
	v_addc_co_u32_e32 v6, vcc, v6, v10, vcc
	v_mad_u64_u32 v[9:10], s[0:1], v7, v6, 0
	v_mul_hi_u32 v11, v7, v2
	v_add_co_u32_e32 v13, vcc, v11, v9
	v_addc_co_u32_e32 v14, vcc, 0, v10, vcc
	v_mad_u64_u32 v[9:10], s[0:1], v8, v2, 0
	v_mad_u64_u32 v[11:12], s[0:1], v8, v6, 0
	v_add_co_u32_e32 v2, vcc, v13, v9
	v_addc_co_u32_e32 v2, vcc, v14, v10, vcc
	v_addc_co_u32_e32 v6, vcc, 0, v12, vcc
	v_add_co_u32_e32 v2, vcc, v2, v11
	v_addc_co_u32_e32 v6, vcc, 0, v6, vcc
	v_mul_lo_u32 v11, s29, v2
	v_mul_lo_u32 v12, s28, v6
	v_mad_u64_u32 v[9:10], s[0:1], s28, v2, 0
	v_add3_u32 v10, v10, v12, v11
	v_sub_u32_e32 v11, v8, v10
	v_mov_b32_e32 v12, s29
	v_sub_co_u32_e32 v9, vcc, v7, v9
	v_subb_co_u32_e64 v11, s[0:1], v11, v12, vcc
	v_subrev_co_u32_e64 v12, s[0:1], s28, v9
	v_subbrev_co_u32_e64 v11, s[0:1], 0, v11, s[0:1]
	v_cmp_le_u32_e64 s[0:1], s29, v11
	v_cndmask_b32_e64 v13, 0, -1, s[0:1]
	v_cmp_le_u32_e64 s[0:1], s28, v12
	v_cndmask_b32_e64 v12, 0, -1, s[0:1]
	v_cmp_eq_u32_e64 s[0:1], s29, v11
	v_cndmask_b32_e64 v11, v13, v12, s[0:1]
	v_add_co_u32_e64 v12, s[0:1], 2, v2
	v_addc_co_u32_e64 v13, s[0:1], 0, v6, s[0:1]
	v_add_co_u32_e64 v14, s[0:1], 1, v2
	v_addc_co_u32_e64 v15, s[0:1], 0, v6, s[0:1]
	v_subb_co_u32_e32 v10, vcc, v8, v10, vcc
	v_cmp_ne_u32_e64 s[0:1], 0, v11
	v_cmp_le_u32_e32 vcc, s29, v10
	v_cndmask_b32_e64 v11, v15, v13, s[0:1]
	v_cndmask_b32_e64 v13, 0, -1, vcc
	v_cmp_le_u32_e32 vcc, s28, v9
	v_cndmask_b32_e64 v9, 0, -1, vcc
	v_cmp_eq_u32_e32 vcc, s29, v10
	v_cndmask_b32_e32 v9, v13, v9, vcc
	v_cmp_ne_u32_e32 vcc, 0, v9
	v_cndmask_b32_e32 v77, v6, v11, vcc
	v_cndmask_b32_e64 v6, v14, v12, s[0:1]
	v_cndmask_b32_e32 v76, v2, v6, vcc
.LBB0_4:                                ;   in Loop: Header=BB0_2 Depth=1
	s_andn2_saveexec_b64 s[0:1], s[30:31]
	s_cbranch_execz .LBB0_6
; %bb.5:                                ;   in Loop: Header=BB0_2 Depth=1
	v_cvt_f32_u32_e32 v2, s28
	s_sub_i32 s30, 0, s28
	v_mov_b32_e32 v77, v5
	v_rcp_iflag_f32_e32 v2, v2
	v_mul_f32_e32 v2, 0x4f7ffffe, v2
	v_cvt_u32_f32_e32 v2, v2
	v_mul_lo_u32 v6, s30, v2
	v_mul_hi_u32 v6, v2, v6
	v_add_u32_e32 v2, v2, v6
	v_mul_hi_u32 v2, v7, v2
	v_mul_lo_u32 v6, v2, s28
	v_add_u32_e32 v9, 1, v2
	v_sub_u32_e32 v6, v7, v6
	v_subrev_u32_e32 v10, s28, v6
	v_cmp_le_u32_e32 vcc, s28, v6
	v_cndmask_b32_e32 v6, v6, v10, vcc
	v_cndmask_b32_e32 v2, v2, v9, vcc
	v_add_u32_e32 v9, 1, v2
	v_cmp_le_u32_e32 vcc, s28, v6
	v_cndmask_b32_e32 v76, v2, v9, vcc
.LBB0_6:                                ;   in Loop: Header=BB0_2 Depth=1
	s_or_b64 exec, exec, s[0:1]
	v_mul_lo_u32 v2, v77, s28
	v_mul_lo_u32 v6, v76, s29
	v_mad_u64_u32 v[9:10], s[0:1], v76, s28, 0
	s_load_dwordx2 s[0:1], s[6:7], 0x0
	s_load_dwordx2 s[28:29], s[2:3], 0x0
	v_add3_u32 v2, v10, v6, v2
	v_sub_co_u32_e32 v6, vcc, v7, v9
	v_subb_co_u32_e32 v2, vcc, v8, v2, vcc
	s_waitcnt lgkmcnt(0)
	v_mul_lo_u32 v7, s0, v2
	v_mul_lo_u32 v8, s1, v6
	v_mad_u64_u32 v[3:4], s[0:1], s0, v6, v[3:4]
	s_add_u32 s26, s26, 1
	s_addc_u32 s27, s27, 0
	s_add_u32 s2, s2, 8
	v_mul_lo_u32 v2, s28, v2
	v_mul_lo_u32 v9, s29, v6
	v_mad_u64_u32 v[74:75], s[0:1], s28, v6, v[74:75]
	v_add3_u32 v4, v8, v4, v7
	s_addc_u32 s3, s3, 0
	v_mov_b32_e32 v6, s10
	s_add_u32 s6, s6, 8
	v_mov_b32_e32 v7, s11
	s_addc_u32 s7, s7, 0
	v_cmp_ge_u64_e32 vcc, s[26:27], v[6:7]
	s_add_u32 s24, s24, 8
	v_add3_u32 v75, v9, v75, v2
	s_addc_u32 s25, s25, 0
	s_cbranch_vccnz .LBB0_8
; %bb.7:                                ;   in Loop: Header=BB0_2 Depth=1
	v_mov_b32_e32 v7, v76
	v_mov_b32_e32 v8, v77
	s_branch .LBB0_2
.LBB0_8:
	s_load_dwordx2 s[0:1], s[4:5], 0x28
	s_mov_b32 s4, 0x3483484
	v_mul_hi_u32 v2, v0, s4
	s_lshl_b64 s[2:3], s[10:11], 3
	s_add_u32 s4, s18, s2
	s_waitcnt lgkmcnt(0)
	v_cmp_gt_u64_e32 vcc, s[0:1], v[76:77]
	v_mul_u32_u24_e32 v2, 0x4e, v2
	v_sub_u32_e32 v96, v0, v2
	s_movk_i32 s0, 0x42
	v_cmp_gt_u32_e64 s[0:1], s0, v96
	s_addc_u32 s5, s19, s3
	s_and_b64 s[10:11], vcc, s[0:1]
                                        ; implicit-def: $vgpr8_vgpr9
                                        ; implicit-def: $vgpr12_vgpr13
                                        ; implicit-def: $vgpr20_vgpr21
                                        ; implicit-def: $vgpr24_vgpr25
                                        ; implicit-def: $vgpr28_vgpr29
                                        ; implicit-def: $vgpr32_vgpr33
                                        ; implicit-def: $vgpr36_vgpr37
                                        ; implicit-def: $vgpr40_vgpr41
                                        ; implicit-def: $vgpr44_vgpr45
                                        ; implicit-def: $vgpr50_vgpr51
                                        ; implicit-def: $vgpr68_vgpr69
                                        ; implicit-def: $vgpr72_vgpr73
                                        ; implicit-def: $vgpr16_vgpr17
	s_and_saveexec_b64 s[6:7], s[10:11]
	s_cbranch_execz .LBB0_10
; %bb.9:
	s_add_u32 s2, s16, s2
	s_addc_u32 s3, s17, s3
	s_load_dwordx2 s[2:3], s[2:3], 0x0
	v_mad_u64_u32 v[5:6], s[10:11], s22, v96, 0
	v_add_u32_e32 v12, 0xc6, v96
	v_add_u32_e32 v16, 0x14a, v96
	s_waitcnt lgkmcnt(0)
	v_mul_lo_u32 v2, s3, v76
	v_mul_lo_u32 v11, s2, v77
	v_mad_u64_u32 v[7:8], s[2:3], s2, v76, 0
	v_mov_b32_e32 v0, v6
	v_mad_u64_u32 v[9:10], s[2:3], s23, v96, v[0:1]
	v_add3_u32 v8, v8, v11, v2
	v_lshlrev_b64 v[7:8], 4, v[7:8]
	v_mov_b32_e32 v6, v9
	v_mov_b32_e32 v0, s13
	v_add_co_u32_e64 v9, s[2:3], s12, v7
	v_lshlrev_b64 v[2:3], 4, v[3:4]
	v_add_u32_e32 v4, 0x42, v96
	v_addc_co_u32_e64 v0, s[2:3], v0, v8, s[2:3]
	v_mad_u64_u32 v[7:8], s[2:3], s22, v4, 0
	v_add_co_u32_e64 v14, s[2:3], v9, v2
	v_addc_co_u32_e64 v15, s[2:3], v0, v3, s[2:3]
	v_mov_b32_e32 v0, v8
	v_lshlrev_b64 v[2:3], 4, v[5:6]
	v_mad_u64_u32 v[4:5], s[2:3], s23, v4, v[0:1]
	v_add_u32_e32 v9, 0x84, v96
	v_mad_u64_u32 v[5:6], s[2:3], s22, v9, 0
	v_add_co_u32_e64 v2, s[2:3], v14, v2
	v_mov_b32_e32 v0, v6
	v_addc_co_u32_e64 v3, s[2:3], v15, v3, s[2:3]
	v_mad_u64_u32 v[9:10], s[2:3], s23, v9, v[0:1]
	v_mad_u64_u32 v[10:11], s[2:3], s22, v12, 0
	v_mov_b32_e32 v8, v4
	v_lshlrev_b64 v[7:8], 4, v[7:8]
	v_mov_b32_e32 v6, v9
	v_add_co_u32_e64 v46, s[2:3], v14, v7
	v_mov_b32_e32 v0, v11
	v_addc_co_u32_e64 v47, s[2:3], v15, v8, s[2:3]
	v_lshlrev_b64 v[4:5], 4, v[5:6]
	v_mad_u64_u32 v[6:7], s[2:3], s23, v12, v[0:1]
	v_add_u32_e32 v12, 0x108, v96
	v_mad_u64_u32 v[7:8], s[2:3], s22, v12, 0
	v_add_co_u32_e64 v4, s[2:3], v14, v4
	v_mov_b32_e32 v11, v6
	v_mov_b32_e32 v0, v8
	v_addc_co_u32_e64 v5, s[2:3], v15, v5, s[2:3]
	v_lshlrev_b64 v[9:10], 4, v[10:11]
	v_mad_u64_u32 v[11:12], s[2:3], s23, v12, v[0:1]
	v_mad_u64_u32 v[12:13], s[2:3], s22, v16, 0
	v_add_co_u32_e64 v52, s[2:3], v14, v9
	v_mov_b32_e32 v8, v11
	v_mov_b32_e32 v0, v13
	v_addc_co_u32_e64 v53, s[2:3], v15, v10, s[2:3]
	v_lshlrev_b64 v[6:7], 4, v[7:8]
	v_mad_u64_u32 v[8:9], s[2:3], s23, v16, v[0:1]
	v_add_u32_e32 v11, 0x18c, v96
	v_mad_u64_u32 v[9:10], s[2:3], s22, v11, 0
	v_add_co_u32_e64 v54, s[2:3], v14, v6
	v_mov_b32_e32 v0, v10
	v_addc_co_u32_e64 v55, s[2:3], v15, v7, s[2:3]
	v_mov_b32_e32 v13, v8
	v_mad_u64_u32 v[10:11], s[2:3], s23, v11, v[0:1]
	v_add_u32_e32 v8, 0x1ce, v96
	v_lshlrev_b64 v[6:7], 4, v[12:13]
	v_mad_u64_u32 v[11:12], s[2:3], s22, v8, 0
	v_add_co_u32_e64 v56, s[2:3], v14, v6
	v_mov_b32_e32 v0, v12
	v_addc_co_u32_e64 v57, s[2:3], v15, v7, s[2:3]
	v_lshlrev_b64 v[6:7], 4, v[9:10]
	v_mad_u64_u32 v[8:9], s[2:3], s23, v8, v[0:1]
	v_add_u32_e32 v13, 0x210, v96
	v_mad_u64_u32 v[9:10], s[2:3], s22, v13, 0
	v_add_co_u32_e64 v58, s[2:3], v14, v6
	v_mov_b32_e32 v12, v8
	v_mov_b32_e32 v0, v10
	v_addc_co_u32_e64 v59, s[2:3], v15, v7, s[2:3]
	v_lshlrev_b64 v[6:7], 4, v[11:12]
	v_mad_u64_u32 v[10:11], s[2:3], s23, v13, v[0:1]
	v_add_u32_e32 v8, 0x252, v96
	v_mad_u64_u32 v[11:12], s[2:3], s22, v8, 0
	v_add_co_u32_e64 v60, s[2:3], v14, v6
	v_mov_b32_e32 v0, v12
	v_addc_co_u32_e64 v61, s[2:3], v15, v7, s[2:3]
	v_lshlrev_b64 v[6:7], 4, v[9:10]
	v_mad_u64_u32 v[8:9], s[2:3], s23, v8, v[0:1]
	v_add_u32_e32 v13, 0x294, v96
	v_mad_u64_u32 v[9:10], s[2:3], s22, v13, 0
	v_add_co_u32_e64 v62, s[2:3], v14, v6
	v_mov_b32_e32 v12, v8
	v_mov_b32_e32 v0, v10
	v_addc_co_u32_e64 v63, s[2:3], v15, v7, s[2:3]
	v_lshlrev_b64 v[6:7], 4, v[11:12]
	v_mad_u64_u32 v[10:11], s[2:3], s23, v13, v[0:1]
	v_add_u32_e32 v8, 0x2d6, v96
	v_mad_u64_u32 v[11:12], s[2:3], s22, v8, 0
	v_add_co_u32_e64 v64, s[2:3], v14, v6
	v_mov_b32_e32 v0, v12
	v_addc_co_u32_e64 v65, s[2:3], v15, v7, s[2:3]
	v_lshlrev_b64 v[6:7], 4, v[9:10]
	v_mad_u64_u32 v[8:9], s[2:3], s23, v8, v[0:1]
	v_add_u32_e32 v13, 0x318, v96
	v_mad_u64_u32 v[9:10], s[2:3], s22, v13, 0
	v_add_co_u32_e64 v78, s[2:3], v14, v6
	v_mov_b32_e32 v12, v8
	v_mov_b32_e32 v0, v10
	v_addc_co_u32_e64 v79, s[2:3], v15, v7, s[2:3]
	v_lshlrev_b64 v[6:7], 4, v[11:12]
	v_mad_u64_u32 v[10:11], s[2:3], s23, v13, v[0:1]
	v_add_co_u32_e64 v80, s[2:3], v14, v6
	v_addc_co_u32_e64 v81, s[2:3], v15, v7, s[2:3]
	v_lshlrev_b64 v[6:7], 4, v[9:10]
	v_add_co_u32_e64 v82, s[2:3], v14, v6
	v_addc_co_u32_e64 v83, s[2:3], v15, v7, s[2:3]
	global_load_dwordx4 v[14:17], v[2:3], off
	global_load_dwordx4 v[70:73], v[46:47], off
	;; [unrolled: 1-line block ×13, first 2 shown]
.LBB0_10:
	s_or_b64 exec, exec, s[6:7]
	s_waitcnt vmcnt(0)
	v_add_f64 v[4:5], v[6:7], v[70:71]
	s_mov_b32 s2, 0x1ea71119
	s_mov_b32 s3, 0x3fe22d96
	v_add_f64 v[46:47], v[72:73], -v[8:9]
	v_add_f64 v[52:53], v[10:11], v[66:67]
	s_mov_b32 s18, 0x42a4c3d2
	s_mov_b32 s6, 0xb2365da1
	s_mov_b32 s19, 0xbfea55e2
	v_mul_f64 v[58:59], v[4:5], s[2:3]
	s_mov_b32 s7, 0xbfd6b1d8
	v_add_f64 v[54:55], v[68:69], -v[12:13]
	v_add_f64 v[56:57], v[18:19], v[48:49]
	v_mul_f64 v[64:65], v[52:53], s[6:7]
	s_mov_b32 s24, 0x2ef20147
	s_mov_b32 s10, 0x93053d00
	;; [unrolled: 1-line block ×3, first 2 shown]
	v_fma_f64 v[2:3], v[46:47], s[18:19], v[58:59]
	s_mov_b32 s11, 0xbfef11f4
	v_add_f64 v[62:63], v[50:51], -v[20:21]
	v_add_f64 v[60:61], v[22:23], v[42:43]
	v_mul_f64 v[82:83], v[56:57], s[10:11]
	v_fma_f64 v[84:85], v[54:55], s[24:25], v[64:65]
	s_mov_b32 s26, 0x4bc48dbf
	s_mov_b32 s12, 0xd0032e0c
	v_add_f64 v[2:3], v[14:15], v[2:3]
	s_mov_b32 s27, 0xbfcea1e5
	s_mov_b32 s13, 0xbfe7f3cc
	v_add_f64 v[80:81], v[44:45], -v[24:25]
	v_add_f64 v[78:79], v[26:27], v[38:39]
	v_mul_f64 v[94:95], v[60:61], s[12:13]
	v_fma_f64 v[86:87], v[62:63], s[26:27], v[82:83]
	s_mov_b32 s28, 0x24c2f84
	v_add_f64 v[2:3], v[84:85], v[2:3]
	s_mov_b32 s16, 0xebaa3ed8
	s_mov_b32 s29, 0x3fe5384d
	;; [unrolled: 1-line block ×3, first 2 shown]
	v_add_f64 v[88:89], v[40:41], -v[28:29]
	v_mul_f64 v[84:85], v[78:79], s[16:17]
	v_fma_f64 v[90:91], v[80:81], s[28:29], v[94:95]
	s_mov_b32 s30, 0x66966769
	v_add_f64 v[2:3], v[86:87], v[2:3]
	v_add_f64 v[86:87], v[30:31], v[34:35]
	s_mov_b32 s22, 0xe00740e9
	s_mov_b32 s31, 0x3fefc445
	;; [unrolled: 1-line block ×3, first 2 shown]
	v_add_f64 v[92:93], v[36:37], -v[32:33]
	v_fma_f64 v[97:98], v[88:89], s[30:31], v[84:85]
	s_mov_b32 s34, 0x4267c47c
	v_add_f64 v[2:3], v[90:91], v[2:3]
	v_mul_f64 v[90:91], v[86:87], s[22:23]
	s_mov_b32 s35, 0x3fddbe06
	s_mov_b32 s33, 0xaaaaaaab
	v_mul_hi_u32 v0, v1, s33
	v_lshrrev_b32_e32 v0, 1, v0
	v_add_f64 v[2:3], v[97:98], v[2:3]
	v_fma_f64 v[97:98], v[92:93], s[34:35], v[90:91]
	v_lshl_add_u32 v0, v0, 1, v0
	v_sub_u32_e32 v0, v1, v0
	v_mul_u32_u24_e32 v0, 0x35a, v0
	v_add_f64 v[2:3], v[97:98], v[2:3]
	v_lshlrev_b32_e32 v97, 3, v0
	s_and_saveexec_b64 s[36:37], s[0:1]
	s_cbranch_execz .LBB0_12
; %bb.11:
	v_mul_f64 v[0:1], v[46:47], s[26:27]
	v_mul_f64 v[102:103], v[54:55], s[34:35]
	s_mov_b32 s39, 0xbfe5384d
	s_mov_b32 s38, s28
	v_mul_f64 v[108:109], v[62:63], s[38:39]
	s_mov_b32 s41, 0x3fea55e2
	s_mov_b32 s40, s18
	v_mul_f64 v[114:115], v[80:81], s[40:41]
	v_fma_f64 v[104:105], v[4:5], s[10:11], v[0:1]
	v_fma_f64 v[0:1], v[4:5], s[10:11], -v[0:1]
	v_fma_f64 v[110:111], v[52:53], s[22:23], v[102:103]
	v_mul_f64 v[116:117], v[46:47], s[38:39]
	v_fma_f64 v[102:103], v[52:53], s[22:23], -v[102:103]
	v_fma_f64 v[118:119], v[56:57], s[12:13], v[108:109]
	v_mul_f64 v[100:101], v[88:89], s[24:25]
	v_fma_f64 v[108:109], v[56:57], s[12:13], -v[108:109]
	v_add_f64 v[104:105], v[14:15], v[104:105]
	v_add_f64 v[0:1], v[14:15], v[0:1]
	v_mul_f64 v[98:99], v[92:93], s[30:31]
	v_fma_f64 v[122:123], v[4:5], s[12:13], v[116:117]
	v_fma_f64 v[116:117], v[4:5], s[12:13], -v[116:117]
	v_mul_f64 v[120:121], v[62:63], s[18:19]
	s_mov_b32 s45, 0x3fcea1e5
	s_mov_b32 s44, s26
	v_add_f64 v[104:105], v[110:111], v[104:105]
	v_mul_f64 v[110:111], v[54:55], s[30:31]
	v_add_f64 v[0:1], v[102:103], v[0:1]
	v_fma_f64 v[102:103], v[60:61], s[2:3], v[114:115]
	v_add_f64 v[122:123], v[14:15], v[122:123]
	v_fma_f64 v[114:115], v[60:61], s[2:3], -v[114:115]
	v_add_f64 v[116:117], v[14:15], v[116:117]
	v_mul_f64 v[112:113], v[88:89], s[34:35]
	v_add_f64 v[104:105], v[118:119], v[104:105]
	v_fma_f64 v[124:125], v[52:53], s[16:17], v[110:111]
	v_add_f64 v[0:1], v[108:109], v[0:1]
	v_fma_f64 v[108:109], v[78:79], s[6:7], v[100:101]
	v_fma_f64 v[110:111], v[52:53], s[16:17], -v[110:111]
	v_fma_f64 v[100:101], v[78:79], s[6:7], -v[100:101]
	v_mul_f64 v[118:119], v[54:55], s[28:29]
	v_mul_f64 v[106:107], v[92:93], s[24:25]
	v_add_f64 v[102:103], v[102:103], v[104:105]
	v_mul_f64 v[104:105], v[80:81], s[44:45]
	v_add_f64 v[122:123], v[124:125], v[122:123]
	v_fma_f64 v[124:125], v[56:57], s[2:3], v[120:121]
	v_add_f64 v[0:1], v[114:115], v[0:1]
	v_mul_f64 v[114:115], v[46:47], s[24:25]
	v_fma_f64 v[120:121], v[56:57], s[2:3], -v[120:121]
	v_add_f64 v[110:111], v[110:111], v[116:117]
	v_add_f64 v[102:103], v[108:109], v[102:103]
	v_fma_f64 v[108:109], v[86:87], s[16:17], v[98:99]
	v_fma_f64 v[116:117], v[60:61], s[10:11], v[104:105]
	v_add_f64 v[122:123], v[124:125], v[122:123]
	v_fma_f64 v[104:105], v[60:61], s[10:11], -v[104:105]
	v_fma_f64 v[124:125], v[4:5], s[6:7], v[114:115]
	v_add_f64 v[0:1], v[100:101], v[0:1]
	s_mov_b32 s43, 0xbfefc445
	s_mov_b32 s42, s30
	v_add_f64 v[100:101], v[108:109], v[102:103]
	v_add_f64 v[102:103], v[120:121], v[110:111]
	;; [unrolled: 1-line block ×3, first 2 shown]
	v_fma_f64 v[116:117], v[52:53], s[12:13], v[118:119]
	v_add_f64 v[120:121], v[14:15], v[124:125]
	v_mul_f64 v[122:123], v[62:63], s[34:35]
	v_fma_f64 v[124:125], v[78:79], s[22:23], v[112:113]
	v_fma_f64 v[112:113], v[78:79], s[22:23], -v[112:113]
	v_fma_f64 v[98:99], v[86:87], s[16:17], -v[98:99]
	v_add_f64 v[102:103], v[104:105], v[102:103]
	v_fma_f64 v[108:109], v[86:87], s[6:7], v[106:107]
	v_mul_f64 v[104:105], v[80:81], s[42:43]
	v_add_f64 v[116:117], v[116:117], v[120:121]
	v_fma_f64 v[120:121], v[56:57], s[22:23], v[122:123]
	v_add_f64 v[110:111], v[124:125], v[110:111]
	v_fma_f64 v[114:115], v[4:5], s[6:7], -v[114:115]
	v_fma_f64 v[106:107], v[86:87], s[6:7], -v[106:107]
	v_add_f64 v[102:103], v[112:113], v[102:103]
	v_mul_f64 v[112:113], v[46:47], s[42:43]
	v_add_f64 v[0:1], v[98:99], v[0:1]
	v_fma_f64 v[98:99], v[60:61], s[16:17], v[104:105]
	v_add_f64 v[116:117], v[120:121], v[116:117]
	v_add_f64 v[108:109], v[108:109], v[110:111]
	v_fma_f64 v[110:111], v[52:53], s[12:13], -v[118:119]
	v_add_f64 v[114:115], v[14:15], v[114:115]
	v_mul_f64 v[118:119], v[54:55], s[26:27]
	v_fma_f64 v[120:121], v[4:5], s[16:17], v[112:113]
	v_fma_f64 v[112:113], v[4:5], s[16:17], -v[112:113]
	v_add_f64 v[124:125], v[70:71], v[14:15]
	v_add_f64 v[102:103], v[106:107], v[102:103]
	v_mul_f64 v[106:107], v[88:89], s[44:45]
	s_mov_b32 s45, 0x3fedeba7
	s_mov_b32 s44, s24
	v_add_f64 v[98:99], v[98:99], v[116:117]
	v_fma_f64 v[116:117], v[56:57], s[22:23], -v[122:123]
	v_add_f64 v[110:111], v[110:111], v[114:115]
	v_fma_f64 v[114:115], v[52:53], s[10:11], v[118:119]
	v_add_f64 v[120:121], v[14:15], v[120:121]
	v_mul_f64 v[122:123], v[62:63], s[44:45]
	v_fma_f64 v[118:119], v[52:53], s[10:11], -v[118:119]
	v_add_f64 v[112:113], v[14:15], v[112:113]
	v_add_f64 v[124:125], v[66:67], v[124:125]
	v_fma_f64 v[104:105], v[60:61], s[16:17], -v[104:105]
	v_add_f64 v[110:111], v[116:117], v[110:111]
	v_mul_f64 v[116:117], v[80:81], s[34:35]
	v_add_f64 v[114:115], v[114:115], v[120:121]
	v_fma_f64 v[120:121], v[56:57], s[6:7], v[122:123]
	v_fma_f64 v[122:123], v[56:57], s[6:7], -v[122:123]
	v_add_f64 v[112:113], v[118:119], v[112:113]
	v_add_f64 v[124:125], v[48:49], v[124:125]
	v_mul_f64 v[118:119], v[46:47], s[18:19]
	v_add_f64 v[104:105], v[104:105], v[110:111]
	v_fma_f64 v[110:111], v[78:79], s[10:11], v[106:107]
	v_fma_f64 v[106:107], v[78:79], s[10:11], -v[106:107]
	v_add_f64 v[114:115], v[120:121], v[114:115]
	v_fma_f64 v[120:121], v[60:61], s[22:23], v[116:117]
	v_add_f64 v[112:113], v[122:123], v[112:113]
	v_fma_f64 v[116:117], v[60:61], s[22:23], -v[116:117]
	v_add_f64 v[124:125], v[42:43], v[124:125]
	v_mul_f64 v[122:123], v[54:55], s[24:25]
	v_add_f64 v[58:59], v[58:59], -v[118:119]
	v_add_f64 v[104:105], v[106:107], v[104:105]
	v_mul_f64 v[106:107], v[80:81], s[28:29]
	v_mul_f64 v[54:55], v[54:55], s[18:19]
	v_add_f64 v[98:99], v[110:111], v[98:99]
	v_add_f64 v[112:113], v[116:117], v[112:113]
	v_mul_f64 v[116:117], v[92:93], s[40:41]
	s_mov_b32 s41, 0xbfddbe06
	s_mov_b32 s40, s34
	v_mul_f64 v[46:47], v[46:47], s[40:41]
	v_add_f64 v[124:125], v[38:39], v[124:125]
	v_add_f64 v[64:65], v[64:65], -v[122:123]
	v_add_f64 v[58:59], v[14:15], v[58:59]
	v_add_f64 v[94:95], v[94:95], -v[106:107]
	v_mul_f64 v[110:111], v[62:63], s[26:27]
	v_mul_f64 v[62:63], v[62:63], s[42:43]
	;; [unrolled: 1-line block ×3, first 2 shown]
	v_fma_f64 v[106:107], v[4:5], s[22:23], -v[46:47]
	v_add_f64 v[124:125], v[34:35], v[124:125]
	v_fma_f64 v[4:5], v[4:5], s[22:23], v[46:47]
	v_add_f64 v[58:59], v[64:65], v[58:59]
	v_fma_f64 v[46:47], v[52:53], s[2:3], -v[54:55]
	v_fma_f64 v[52:53], v[52:53], s[2:3], v[54:55]
	v_add_f64 v[82:83], v[82:83], -v[110:111]
	v_add_f64 v[114:115], v[120:121], v[114:115]
	v_add_f64 v[64:65], v[14:15], v[106:107]
	;; [unrolled: 1-line block ×4, first 2 shown]
	v_mul_f64 v[120:121], v[88:89], s[30:31]
	v_mul_f64 v[110:111], v[88:89], s[18:19]
	v_mul_f64 v[88:89], v[88:89], s[38:39]
	v_add_f64 v[58:59], v[82:83], v[58:59]
	v_mul_f64 v[82:83], v[92:93], s[26:27]
	v_add_f64 v[14:15], v[46:47], v[64:65]
	v_fma_f64 v[46:47], v[56:57], s[16:17], -v[62:63]
	v_add_f64 v[64:65], v[26:27], v[106:107]
	v_fma_f64 v[56:57], v[56:57], s[16:17], v[62:63]
	v_add_f64 v[4:5], v[52:53], v[4:5]
	v_fma_f64 v[52:53], v[60:61], s[6:7], -v[80:81]
	v_fma_f64 v[60:61], v[60:61], s[6:7], v[80:81]
	v_mul_f64 v[118:119], v[92:93], s[34:35]
	v_mul_f64 v[124:125], v[92:93], s[38:39]
	v_add_f64 v[14:15], v[46:47], v[14:15]
	v_add_f64 v[46:47], v[22:23], v[64:65]
	v_fma_f64 v[106:107], v[78:79], s[2:3], -v[110:111]
	v_add_f64 v[4:5], v[56:57], v[4:5]
	v_fma_f64 v[56:57], v[78:79], s[12:13], -v[88:89]
	v_add_f64 v[64:65], v[84:85], -v[120:121]
	v_fma_f64 v[54:55], v[78:79], s[2:3], v[110:111]
	v_fma_f64 v[78:79], v[78:79], s[12:13], v[88:89]
	v_add_f64 v[14:15], v[52:53], v[14:15]
	v_add_f64 v[46:47], v[18:19], v[46:47]
	;; [unrolled: 1-line block ×4, first 2 shown]
	v_fma_f64 v[60:61], v[86:87], s[10:11], -v[82:83]
	v_fma_f64 v[62:63], v[86:87], s[12:13], -v[124:125]
	v_add_f64 v[58:59], v[106:107], v[112:113]
	v_add_f64 v[80:81], v[90:91], -v[118:119]
	v_add_f64 v[14:15], v[56:57], v[14:15]
	v_add_f64 v[46:47], v[10:11], v[46:47]
	;; [unrolled: 1-line block ×3, first 2 shown]
	v_fma_f64 v[122:123], v[86:87], s[2:3], v[116:117]
	v_fma_f64 v[116:117], v[86:87], s[2:3], -v[116:117]
	v_fma_f64 v[56:57], v[86:87], s[12:13], v[124:125]
	v_add_f64 v[54:55], v[54:55], v[114:115]
	v_fma_f64 v[64:65], v[86:87], s[10:11], v[82:83]
	v_add_f64 v[4:5], v[78:79], v[4:5]
	v_add_f64 v[14:15], v[60:61], v[14:15]
	;; [unrolled: 1-line block ×9, first 2 shown]
	v_mul_u32_u24_e32 v56, 0x68, v96
	v_add3_u32 v56, 0, v56, v97
	ds_write2_b64 v56, v[46:47], v[14:15] offset1:1
	ds_write2_b64 v56, v[52:53], v[58:59] offset0:2 offset1:3
	ds_write2_b64 v56, v[60:61], v[102:103] offset0:4 offset1:5
	;; [unrolled: 1-line block ×5, first 2 shown]
	ds_write_b64 v56, v[4:5] offset:96
.LBB0_12:
	s_or_b64 exec, exec, s[36:37]
	v_add_f64 v[94:95], v[70:71], -v[6:7]
	v_add_f64 v[88:89], v[8:9], v[72:73]
	v_add_f64 v[86:87], v[66:67], -v[10:11]
	v_add_f64 v[84:85], v[12:13], v[68:69]
	;; [unrolled: 2-line block ×4, first 2 shown]
	v_mul_f64 v[90:91], v[94:95], s[18:19]
	v_add_f64 v[22:23], v[38:39], -v[26:27]
	v_mul_f64 v[92:93], v[86:87], s[24:25]
	v_add_f64 v[14:15], v[28:29], v[40:41]
	v_mul_f64 v[82:83], v[80:81], s[26:27]
	v_add_f64 v[10:11], v[34:35], -v[30:31]
	v_mul_f64 v[38:39], v[70:71], s[28:29]
	s_waitcnt lgkmcnt(0)
	v_fma_f64 v[0:1], v[88:89], s[2:3], -v[90:91]
	v_mul_f64 v[26:27], v[22:23], s[30:31]
	v_fma_f64 v[4:5], v[84:85], s[6:7], -v[92:93]
	s_barrier
	v_fma_f64 v[6:7], v[78:79], s[10:11], -v[82:83]
	v_mul_f64 v[18:19], v[10:11], s[34:35]
	v_fma_f64 v[30:31], v[42:43], s[12:13], -v[38:39]
	v_add_f64 v[0:1], v[16:17], v[0:1]
	v_add_f64 v[0:1], v[4:5], v[0:1]
	v_add_f64 v[4:5], v[32:33], v[36:37]
	v_add_f64 v[0:1], v[6:7], v[0:1]
	v_fma_f64 v[6:7], v[14:15], s[16:17], -v[26:27]
	v_fma_f64 v[34:35], v[4:5], s[22:23], -v[18:19]
	v_add_f64 v[0:1], v[30:31], v[0:1]
	v_lshlrev_b32_e32 v30, 3, v96
	v_add_u32_e32 v100, 0, v30
	v_add_u32_e32 v98, v100, v97
	v_add3_u32 v99, 0, v97, v30
	v_add_u32_e32 v30, 0x400, v98
	ds_read2_b64 v[64:67], v98 offset0:78 offset1:156
	v_add_u32_e32 v31, 0x800, v98
	v_add_f64 v[6:7], v[6:7], v[0:1]
	ds_read_b64 v[0:1], v99
	ds_read2_b64 v[60:63], v30 offset0:106 offset1:184
	ds_read2_b64 v[52:55], v31 offset0:134 offset1:212
	v_add_f64 v[6:7], v[34:35], v[6:7]
	v_add_u32_e32 v34, 0x1000, v98
	v_add_u32_e32 v35, 0x1400, v98
	ds_read2_b64 v[46:49], v34 offset0:34 offset1:112
	ds_read2_b64 v[56:59], v35 offset0:62 offset1:140
	s_waitcnt lgkmcnt(0)
	s_barrier
	s_and_saveexec_b64 s[18:19], s[0:1]
	s_cbranch_execz .LBB0_14
; %bb.13:
	v_add_f64 v[72:73], v[72:73], v[16:17]
	v_mul_f64 v[109:110], v[14:15], s[16:17]
	s_mov_b32 s17, 0xbfddbe06
	s_mov_b32 s16, 0x4267c47c
	v_mul_f64 v[101:102], v[88:89], s[2:3]
	v_mul_f64 v[105:106], v[78:79], s[10:11]
	;; [unrolled: 1-line block ×3, first 2 shown]
	s_mov_b32 s12, 0xe00740e9
	v_add_f64 v[68:69], v[68:69], v[72:73]
	v_mul_f64 v[72:73], v[4:5], s[22:23]
	s_mov_b32 s34, 0x66966769
	s_mov_b32 s10, 0x2ef20147
	;; [unrolled: 1-line block ×6, first 2 shown]
	v_add_f64 v[50:51], v[50:51], v[68:69]
	s_mov_b32 s35, 0xbfefc445
	s_mov_b32 s11, 0xbfedeba7
	;; [unrolled: 1-line block ×5, first 2 shown]
	v_mul_f64 v[103:104], v[84:85], s[6:7]
	v_mul_f64 v[68:69], v[94:95], s[10:11]
	v_add_f64 v[44:45], v[44:45], v[50:51]
	v_mul_f64 v[50:51], v[94:95], s[34:35]
	v_mul_f64 v[111:112], v[86:87], s[36:37]
	v_add_f64 v[90:91], v[101:102], v[90:91]
	s_mov_b32 s0, 0xebaa3ed8
	s_mov_b32 s2, 0xb2365da1
	;; [unrolled: 1-line block ×4, first 2 shown]
	v_add_f64 v[40:41], v[40:41], v[44:45]
	v_mul_f64 v[44:45], v[94:95], s[16:17]
	s_mov_b32 s24, 0x1ea71119
	s_mov_b32 s1, 0x3fbedb7d
	;; [unrolled: 1-line block ×6, first 2 shown]
	v_add_f64 v[36:37], v[36:37], v[40:41]
	v_mul_f64 v[40:41], v[94:95], s[22:23]
	v_mul_f64 v[94:95], v[94:95], s[28:29]
	v_fma_f64 v[101:102], v[88:89], s[12:13], v[44:45]
	s_mov_b32 s39, 0x3fe5384d
	s_mov_b32 s38, s22
	s_mov_b32 s17, 0x3fddbe06
	v_mul_f64 v[113:114], v[86:87], s[28:29]
	v_add_f64 v[32:33], v[32:33], v[36:37]
	v_mul_f64 v[36:37], v[86:87], s[38:39]
	v_add_f64 v[92:93], v[103:104], v[92:93]
	v_fma_f64 v[44:45], v[88:89], s[12:13], -v[44:45]
	v_fma_f64 v[103:104], v[88:89], s[0:1], v[50:51]
	v_fma_f64 v[117:118], v[88:89], s[6:7], v[40:41]
	v_fma_f64 v[40:41], v[88:89], s[6:7], -v[40:41]
	v_fma_f64 v[119:120], v[88:89], s[26:27], v[94:95]
	v_add_f64 v[28:29], v[28:29], v[32:33]
	v_fma_f64 v[32:33], v[88:89], s[0:1], -v[50:51]
	v_fma_f64 v[50:51], v[88:89], s[2:3], v[68:69]
	v_fma_f64 v[68:69], v[88:89], s[2:3], -v[68:69]
	v_fma_f64 v[88:89], v[88:89], s[26:27], -v[94:95]
	s_mov_b32 s31, 0x3fefc445
	s_mov_b32 s30, s34
	;; [unrolled: 1-line block ×3, first 2 shown]
	v_add_f64 v[24:25], v[24:25], v[28:29]
	v_fma_f64 v[28:29], v[84:85], s[24:25], v[111:112]
	s_mov_b32 s38, s10
	v_mul_f64 v[115:116], v[86:87], s[30:31]
	v_fma_f64 v[94:95], v[84:85], s[24:25], -v[111:112]
	v_fma_f64 v[111:112], v[84:85], s[26:27], v[113:114]
	v_fma_f64 v[121:122], v[84:85], s[6:7], v[36:37]
	v_fma_f64 v[36:37], v[84:85], s[6:7], -v[36:37]
	v_add_f64 v[20:21], v[20:21], v[24:25]
	v_add_f64 v[24:25], v[16:17], v[90:91]
	;; [unrolled: 1-line block ×15, first 2 shown]
	v_mul_f64 v[88:89], v[80:81], s[34:35]
	v_add_f64 v[8:9], v[8:9], v[12:13]
	v_mul_f64 v[12:13], v[86:87], s[16:17]
	v_mul_f64 v[92:93], v[80:81], s[38:39]
	v_fma_f64 v[113:114], v[84:85], s[26:27], -v[113:114]
	v_fma_f64 v[123:124], v[84:85], s[0:1], v[115:116]
	v_add_f64 v[44:45], v[94:95], v[44:45]
	v_add_f64 v[86:87], v[111:112], v[101:102]
	;; [unrolled: 1-line block ×3, first 2 shown]
	v_fma_f64 v[68:69], v[84:85], s[0:1], -v[115:116]
	v_fma_f64 v[90:91], v[84:85], s[12:13], v[12:13]
	v_fma_f64 v[12:13], v[84:85], s[12:13], -v[12:13]
	v_fma_f64 v[84:85], v[78:79], s[0:1], v[88:89]
	v_fma_f64 v[88:89], v[78:79], s[0:1], -v[88:89]
	v_add_f64 v[32:33], v[113:114], v[32:33]
	v_add_f64 v[20:21], v[123:124], v[20:21]
	;; [unrolled: 1-line block ×7, first 2 shown]
	v_fma_f64 v[82:83], v[78:79], s[2:3], v[92:93]
	v_mul_f64 v[90:91], v[80:81], s[16:17]
	v_add_f64 v[28:29], v[84:85], v[28:29]
	v_add_f64 v[44:45], v[88:89], v[44:45]
	v_mul_f64 v[84:85], v[80:81], s[36:37]
	v_fma_f64 v[88:89], v[78:79], s[2:3], -v[92:93]
	s_mov_b32 s39, 0x3fea55e2
	v_add_f64 v[16:17], v[16:17], v[24:25]
	v_mul_f64 v[24:25], v[80:81], s[22:23]
	v_add_f64 v[80:81], v[82:83], v[86:87]
	v_mul_f64 v[82:83], v[70:71], s[10:11]
	v_fma_f64 v[92:93], v[78:79], s[12:13], v[90:91]
	v_fma_f64 v[90:91], v[78:79], s[12:13], -v[90:91]
	v_fma_f64 v[86:87], v[78:79], s[24:25], v[84:85]
	v_add_f64 v[32:33], v[88:89], v[32:33]
	v_fma_f64 v[84:85], v[78:79], s[24:25], -v[84:85]
	v_fma_f64 v[88:89], v[78:79], s[6:7], v[24:25]
	v_fma_f64 v[24:25], v[78:79], s[6:7], -v[24:25]
	v_fma_f64 v[78:79], v[42:43], s[2:3], v[82:83]
	v_fma_f64 v[82:83], v[42:43], s[2:3], -v[82:83]
	s_mov_b32 s38, s36
	v_add_f64 v[20:21], v[86:87], v[20:21]
	v_mul_f64 v[86:87], v[70:71], s[16:17]
	v_add_f64 v[36:37], v[90:91], v[36:37]
	v_add_f64 v[40:41], v[84:85], v[40:41]
	;; [unrolled: 1-line block ×4, first 2 shown]
	v_mul_f64 v[28:29], v[70:71], s[34:35]
	s_mov_b32 s35, 0x3fcea1e5
	s_mov_b32 s34, s28
	v_mul_f64 v[78:79], v[70:71], s[34:35]
	v_mul_f64 v[70:71], v[70:71], s[38:39]
	v_add_f64 v[44:45], v[82:83], v[44:45]
	v_add_f64 v[16:17], v[38:39], v[16:17]
	v_fma_f64 v[38:39], v[42:43], s[12:13], v[86:87]
	v_fma_f64 v[84:85], v[42:43], s[0:1], v[28:29]
	v_fma_f64 v[28:29], v[42:43], s[0:1], -v[28:29]
	v_fma_f64 v[82:83], v[42:43], s[12:13], -v[86:87]
	v_mul_f64 v[86:87], v[22:23], s[22:23]
	v_add_f64 v[50:51], v[121:122], v[50:51]
	v_add_f64 v[26:27], v[109:110], v[26:27]
	;; [unrolled: 1-line block ×4, first 2 shown]
	v_fma_f64 v[80:81], v[42:43], s[26:27], v[78:79]
	v_add_f64 v[28:29], v[28:29], v[36:37]
	v_fma_f64 v[36:37], v[42:43], s[24:25], -v[70:71]
	v_fma_f64 v[78:79], v[42:43], s[26:27], -v[78:79]
	v_add_f64 v[32:33], v[82:83], v[32:33]
	v_fma_f64 v[82:83], v[42:43], s[24:25], v[70:71]
	v_fma_f64 v[42:43], v[14:15], s[6:7], v[86:87]
	v_mul_f64 v[70:71], v[22:23], s[36:37]
	v_add_f64 v[50:51], v[92:93], v[50:51]
	v_add_f64 v[20:21], v[80:81], v[20:21]
	;; [unrolled: 1-line block ×3, first 2 shown]
	v_mul_f64 v[36:37], v[22:23], s[34:35]
	v_add_f64 v[40:41], v[78:79], v[40:41]
	v_fma_f64 v[78:79], v[14:15], s[6:7], -v[86:87]
	v_add_f64 v[24:25], v[42:43], v[24:25]
	v_mul_f64 v[42:43], v[22:23], s[16:17]
	v_fma_f64 v[80:81], v[14:15], s[24:25], v[70:71]
	v_mul_f64 v[22:23], v[22:23], s[10:11]
	v_add_f64 v[50:51], v[84:85], v[50:51]
	v_add_f64 v[16:17], v[26:27], v[16:17]
	v_fma_f64 v[26:27], v[14:15], s[24:25], -v[70:71]
	v_fma_f64 v[70:71], v[14:15], s[26:27], v[36:37]
	v_add_f64 v[68:69], v[82:83], v[68:69]
	v_add_f64 v[44:45], v[78:79], v[44:45]
	v_fma_f64 v[36:37], v[14:15], s[26:27], -v[36:37]
	v_fma_f64 v[78:79], v[14:15], s[12:13], v[42:43]
	v_add_f64 v[38:39], v[80:81], v[38:39]
	v_fma_f64 v[42:43], v[14:15], s[12:13], -v[42:43]
	v_fma_f64 v[80:81], v[14:15], s[2:3], v[22:23]
	v_mul_f64 v[82:83], v[10:11], s[28:29]
	v_fma_f64 v[14:15], v[14:15], s[2:3], -v[22:23]
	v_add_f64 v[26:27], v[26:27], v[32:33]
	v_add_f64 v[32:33], v[70:71], v[50:51]
	;; [unrolled: 1-line block ×3, first 2 shown]
	v_mul_f64 v[50:51], v[10:11], s[22:23]
	v_add_f64 v[28:29], v[36:37], v[28:29]
	v_add_f64 v[22:23], v[42:43], v[40:41]
	v_add_f64 v[36:37], v[80:81], v[68:69]
	v_fma_f64 v[40:41], v[4:5], s[26:27], v[82:83]
	v_fma_f64 v[42:43], v[4:5], s[26:27], -v[82:83]
	v_mul_f64 v[68:69], v[10:11], s[38:39]
	v_add_f64 v[12:13], v[14:15], v[12:13]
	v_mul_f64 v[14:15], v[10:11], s[10:11]
	v_mul_f64 v[10:11], v[10:11], s[30:31]
	v_add_f64 v[16:17], v[18:19], v[16:17]
	v_fma_f64 v[18:19], v[4:5], s[6:7], v[50:51]
	v_add_f64 v[20:21], v[78:79], v[20:21]
	v_add_f64 v[24:25], v[40:41], v[24:25]
	;; [unrolled: 1-line block ×3, first 2 shown]
	v_fma_f64 v[42:43], v[4:5], s[24:25], v[68:69]
	v_fma_f64 v[44:45], v[4:5], s[24:25], -v[68:69]
	v_fma_f64 v[68:69], v[4:5], s[2:3], v[14:15]
	v_fma_f64 v[70:71], v[4:5], s[0:1], v[10:11]
	v_fma_f64 v[10:11], v[4:5], s[0:1], -v[10:11]
	v_fma_f64 v[14:15], v[4:5], s[2:3], -v[14:15]
	;; [unrolled: 1-line block ×3, first 2 shown]
	v_add_f64 v[18:19], v[18:19], v[38:39]
	v_add_f64 v[32:33], v[42:43], v[32:33]
	;; [unrolled: 1-line block ×8, first 2 shown]
	v_mul_u32_u24_e32 v14, 0x60, v96
	v_add3_u32 v14, v100, v14, v97
	ds_write2_b64 v14, v[8:9], v[24:25] offset1:1
	ds_write2_b64 v14, v[16:17], v[18:19] offset0:2 offset1:3
	ds_write2_b64 v14, v[32:33], v[20:21] offset0:4 offset1:5
	;; [unrolled: 1-line block ×5, first 2 shown]
	ds_write_b64 v14, v[40:41] offset:96
.LBB0_14:
	s_or_b64 exec, exec, s[18:19]
	s_movk_i32 s0, 0x4f
	v_mul_lo_u16_sdwa v4, v96, s0 dst_sel:DWORD dst_unused:UNUSED_PAD src0_sel:BYTE_0 src1_sel:DWORD
	v_lshrrev_b16_e32 v24, 10, v4
	v_mul_lo_u16_e32 v4, 13, v24
	v_sub_u16_e32 v25, v96, v4
	v_mov_b32_e32 v4, 10
	v_mul_u32_u24_sdwa v4, v25, v4 dst_sel:DWORD dst_unused:UNUSED_PAD src0_sel:BYTE_0 src1_sel:DWORD
	v_lshlrev_b32_e32 v4, 4, v4
	s_load_dwordx2 s[2:3], s[4:5], 0x0
	s_waitcnt lgkmcnt(0)
	s_barrier
	global_load_dwordx4 v[8:11], v4, s[8:9]
	global_load_dwordx4 v[12:15], v4, s[8:9] offset:16
	global_load_dwordx4 v[16:19], v4, s[8:9] offset:32
	;; [unrolled: 1-line block ×9, first 2 shown]
	ds_read_b64 v[4:5], v99
	ds_read2_b64 v[70:73], v98 offset0:78 offset1:156
	ds_read2_b64 v[90:93], v30 offset0:106 offset1:184
	ds_read2_b64 v[100:103], v31 offset0:134 offset1:212
	ds_read2_b64 v[104:107], v34 offset0:34 offset1:112
	ds_read2_b64 v[108:111], v35 offset0:62 offset1:140
	s_mov_b32 s22, 0xf8bb580b
	s_mov_b32 s36, 0x8eee2c13
	;; [unrolled: 1-line block ×28, first 2 shown]
	s_movk_i32 s0, 0x478
	v_mad_u32_u24 v24, v24, s0, 0
	s_waitcnt vmcnt(0) lgkmcnt(0)
	s_barrier
	s_movk_i32 s0, 0x41
	v_cmp_gt_u32_e64 s[0:1], s0, v96
	v_mul_f64 v[31:32], v[70:71], v[10:11]
	v_mul_f64 v[10:11], v[64:65], v[10:11]
	;; [unrolled: 1-line block ×8, first 2 shown]
	v_fma_f64 v[68:69], v[64:65], v[8:9], -v[31:32]
	v_fma_f64 v[70:71], v[70:71], v[8:9], v[10:11]
	v_mul_f64 v[8:9], v[106:107], v[80:81]
	v_mul_f64 v[28:29], v[52:53], v[28:29]
	v_fma_f64 v[66:67], v[66:67], v[12:13], -v[33:34]
	v_fma_f64 v[34:35], v[62:63], v[20:21], -v[94:95]
	v_fma_f64 v[32:33], v[92:93], v[20:21], v[22:23]
	v_fma_f64 v[20:21], v[52:53], v[26:27], -v[112:113]
	v_mul_f64 v[18:19], v[60:61], v[18:19]
	v_fma_f64 v[60:61], v[60:61], v[16:17], -v[44:45]
	v_fma_f64 v[52:53], v[48:49], v[78:79], -v[8:9]
	v_add_f64 v[8:9], v[0:1], v[68:69]
	v_fma_f64 v[64:65], v[72:73], v[12:13], v[14:15]
	v_mul_f64 v[14:15], v[58:59], v[88:89]
	v_mul_f64 v[114:115], v[102:103], v[38:39]
	v_mul_f64 v[38:39], v[54:55], v[38:39]
	v_mul_f64 v[116:117], v[104:105], v[42:43]
	v_mul_f64 v[10:11], v[48:49], v[80:81]
	v_mul_f64 v[80:81], v[108:109], v[84:85]
	v_add_f64 v[8:9], v[8:9], v[66:67]
	v_mul_f64 v[84:85], v[56:57], v[84:85]
	v_mul_f64 v[12:13], v[110:111], v[88:89]
	v_fma_f64 v[44:45], v[110:111], v[86:87], v[14:15]
	v_mul_f64 v[42:43], v[46:47], v[42:43]
	v_fma_f64 v[50:51], v[90:91], v[16:17], v[18:19]
	v_fma_f64 v[22:23], v[54:55], v[36:37], -v[114:115]
	v_fma_f64 v[18:19], v[102:103], v[36:37], v[38:39]
	v_add_f64 v[8:9], v[8:9], v[60:61]
	v_fma_f64 v[36:37], v[46:47], v[40:41], -v[116:117]
	v_fma_f64 v[58:59], v[58:59], v[86:87], -v[12:13]
	v_fma_f64 v[46:47], v[108:109], v[82:83], v[84:85]
	v_fma_f64 v[48:49], v[106:107], v[78:79], v[10:11]
	v_add_f64 v[10:11], v[70:71], -v[44:45]
	v_fma_f64 v[16:17], v[100:101], v[26:27], v[28:29]
	v_fma_f64 v[54:55], v[56:57], v[82:83], -v[80:81]
	v_add_f64 v[8:9], v[8:9], v[34:35]
	v_fma_f64 v[38:39], v[104:105], v[40:41], v[42:43]
	v_add_f64 v[12:13], v[68:69], v[58:59]
	v_add_f64 v[26:27], v[64:65], -v[46:47]
	v_add_f64 v[40:41], v[50:51], -v[48:49]
	v_mul_f64 v[56:57], v[10:11], s[22:23]
	v_mul_f64 v[62:63], v[10:11], s[36:37]
	v_add_f64 v[14:15], v[66:67], v[54:55]
	v_add_f64 v[8:9], v[8:9], v[20:21]
	v_mul_f64 v[72:73], v[10:11], s[12:13]
	v_mul_f64 v[78:79], v[10:11], s[18:19]
	v_mul_f64 v[10:11], v[10:11], s[26:27]
	v_mul_f64 v[80:81], v[26:27], s[36:37]
	v_mul_f64 v[82:83], v[26:27], s[18:19]
	v_fma_f64 v[100:101], v[12:13], s[4:5], -v[56:57]
	v_fma_f64 v[56:57], v[12:13], s[4:5], v[56:57]
	v_add_f64 v[8:9], v[8:9], v[22:23]
	v_fma_f64 v[102:103], v[12:13], s[6:7], -v[62:63]
	v_fma_f64 v[62:63], v[12:13], s[6:7], v[62:63]
	v_add_f64 v[28:29], v[60:61], v[52:53]
	v_mul_f64 v[84:85], v[26:27], s[38:39]
	v_mul_f64 v[86:87], v[26:27], s[34:35]
	;; [unrolled: 1-line block ×4, first 2 shown]
	v_add_f64 v[8:9], v[8:9], v[36:37]
	v_mul_f64 v[90:91], v[40:41], s[38:39]
	v_fma_f64 v[104:105], v[12:13], s[10:11], -v[72:73]
	v_fma_f64 v[72:73], v[12:13], s[10:11], v[72:73]
	v_fma_f64 v[106:107], v[12:13], s[16:17], -v[78:79]
	v_fma_f64 v[78:79], v[12:13], s[16:17], v[78:79]
	;; [unrolled: 2-line block ×5, first 2 shown]
	v_add_f64 v[100:101], v[0:1], v[100:101]
	v_add_f64 v[56:57], v[0:1], v[56:57]
	;; [unrolled: 1-line block ×5, first 2 shown]
	v_add_f64 v[42:43], v[32:33], -v[38:39]
	v_fma_f64 v[112:113], v[14:15], s[24:25], -v[84:85]
	v_fma_f64 v[84:85], v[14:15], s[24:25], v[84:85]
	v_fma_f64 v[114:115], v[14:15], s[10:11], -v[86:87]
	v_fma_f64 v[86:87], v[14:15], s[10:11], v[86:87]
	;; [unrolled: 2-line block ×3, first 2 shown]
	v_fma_f64 v[26:27], v[28:29], s[10:11], -v[88:89]
	v_fma_f64 v[118:119], v[28:29], s[24:25], -v[90:91]
	v_fma_f64 v[90:91], v[28:29], s[24:25], v[90:91]
	v_add_f64 v[104:105], v[0:1], v[104:105]
	v_add_f64 v[72:73], v[0:1], v[72:73]
	;; [unrolled: 1-line block ×11, first 2 shown]
	v_mul_f64 v[92:93], v[40:41], s[30:31]
	v_mul_f64 v[94:95], v[40:41], s[22:23]
	v_fma_f64 v[88:89], v[28:29], s[10:11], v[88:89]
	v_add_f64 v[78:79], v[86:87], v[78:79]
	v_add_f64 v[0:1], v[14:15], v[0:1]
	;; [unrolled: 1-line block ×6, first 2 shown]
	v_mul_f64 v[8:9], v[40:41], s[18:19]
	v_add_f64 v[56:57], v[34:35], v[36:37]
	v_mul_f64 v[86:87], v[42:43], s[18:19]
	v_add_f64 v[72:73], v[84:85], v[72:73]
	v_add_f64 v[82:83], v[114:115], v[106:107]
	v_add_f64 v[12:13], v[88:89], v[12:13]
	v_fma_f64 v[40:41], v[28:29], s[6:7], v[92:93]
	v_fma_f64 v[88:89], v[28:29], s[4:5], -v[94:95]
	v_fma_f64 v[120:121], v[28:29], s[6:7], -v[92:93]
	v_fma_f64 v[90:91], v[28:29], s[4:5], v[94:95]
	v_fma_f64 v[94:95], v[28:29], s[16:17], -v[8:9]
	v_fma_f64 v[8:9], v[28:29], s[16:17], v[8:9]
	v_fma_f64 v[28:29], v[56:57], s[16:17], -v[86:87]
	v_mul_f64 v[92:93], v[42:43], s[34:35]
	v_add_f64 v[40:41], v[40:41], v[72:73]
	v_add_f64 v[72:73], v[88:89], v[82:83]
	v_fma_f64 v[82:83], v[56:57], s[16:17], v[86:87]
	v_add_f64 v[84:85], v[116:117], v[108:109]
	v_add_f64 v[80:81], v[112:113], v[104:105]
	;; [unrolled: 1-line block ×4, first 2 shown]
	v_mul_f64 v[10:11], v[42:43], s[26:27]
	v_add_f64 v[28:29], v[16:17], -v[18:19]
	v_fma_f64 v[86:87], v[56:57], s[10:11], -v[92:93]
	v_mul_f64 v[88:89], v[42:43], s[22:23]
	v_add_f64 v[12:13], v[82:83], v[12:13]
	v_fma_f64 v[82:83], v[56:57], s[10:11], v[92:93]
	v_mul_f64 v[42:43], v[42:43], s[30:31]
	v_add_f64 v[78:79], v[90:91], v[78:79]
	v_add_f64 v[84:85], v[94:95], v[84:85]
	v_fma_f64 v[90:91], v[56:57], s[24:25], -v[10:11]
	v_add_f64 v[92:93], v[20:21], v[22:23]
	v_mul_f64 v[94:95], v[28:29], s[26:27]
	v_add_f64 v[80:81], v[120:121], v[80:81]
	v_add_f64 v[14:15], v[86:87], v[14:15]
	v_fma_f64 v[86:87], v[56:57], s[4:5], -v[88:89]
	v_fma_f64 v[10:11], v[56:57], s[24:25], v[10:11]
	v_add_f64 v[26:27], v[82:83], v[26:27]
	v_fma_f64 v[82:83], v[56:57], s[6:7], -v[42:43]
	v_fma_f64 v[88:89], v[56:57], s[4:5], v[88:89]
	v_fma_f64 v[42:43], v[56:57], s[6:7], v[42:43]
	v_add_f64 v[56:57], v[90:91], v[72:73]
	v_fma_f64 v[72:73], v[92:93], s[24:25], -v[94:95]
	v_add_f64 v[80:81], v[86:87], v[80:81]
	v_add_f64 v[10:11], v[10:11], v[78:79]
	v_fma_f64 v[78:79], v[92:93], s[24:25], v[94:95]
	v_mul_f64 v[86:87], v[28:29], s[28:29]
	v_add_f64 v[82:83], v[82:83], v[84:85]
	v_mul_f64 v[84:85], v[28:29], s[18:19]
	v_add_f64 v[40:41], v[88:89], v[40:41]
	;; [unrolled: 2-line block ×4, first 2 shown]
	v_add_f64 v[0:1], v[78:79], v[12:13]
	v_fma_f64 v[12:13], v[92:93], s[4:5], -v[86:87]
	v_fma_f64 v[28:29], v[92:93], s[4:5], v[86:87]
	v_fma_f64 v[78:79], v[92:93], s[16:17], -v[84:85]
	v_fma_f64 v[84:85], v[92:93], s[16:17], v[84:85]
	v_fma_f64 v[86:87], v[92:93], s[6:7], -v[88:89]
	v_fma_f64 v[90:91], v[92:93], s[10:11], -v[8:9]
	v_fma_f64 v[88:89], v[92:93], s[6:7], v[88:89]
	v_fma_f64 v[8:9], v[92:93], s[10:11], v[8:9]
	v_add_f64 v[92:93], v[12:13], v[14:15]
	v_add_f64 v[14:15], v[28:29], v[26:27]
	;; [unrolled: 1-line block ×8, first 2 shown]
	v_mov_b32_e32 v31, 3
	v_lshlrev_b32_sdwa v25, v31, v25 dst_sel:DWORD dst_unused:UNUSED_PAD src0_sel:DWORD src1_sel:BYTE_0
	v_add3_u32 v56, v24, v25, v97
	v_add_u32_e32 v57, 0xc00, v98
	ds_write2_b64 v56, v[62:63], v[72:73] offset1:13
	ds_write2_b64 v56, v[92:93], v[26:27] offset0:26 offset1:39
	ds_write2_b64 v56, v[28:29], v[40:41] offset0:52 offset1:65
	;; [unrolled: 1-line block ×4, first 2 shown]
	ds_write_b64 v56, v[0:1] offset:1040
	s_waitcnt lgkmcnt(0)
	s_barrier
	ds_read2_b64 v[24:27], v30 offset0:15 offset1:158
	ds_read2_b64 v[28:31], v57 offset0:45 offset1:188
	ds_read_b64 v[40:41], v99
	ds_read_b64 v[42:43], v98 offset:5720
	s_and_saveexec_b64 s[40:41], s[0:1]
	s_cbranch_execz .LBB0_16
; %bb.15:
	v_add_u32_e32 v0, 0x800, v98
	ds_read2_b64 v[12:15], v0 offset0:108 offset1:251
	v_add_u32_e32 v0, 0x1400, v98
	ds_read2_b64 v[8:11], v98 offset0:78 offset1:221
	ds_read2_b64 v[0:3], v0 offset0:10 offset1:153
.LBB0_16:
	s_or_b64 exec, exec, s[40:41]
	v_add_f64 v[62:63], v[4:5], v[70:71]
	v_add_f64 v[52:53], v[60:61], -v[52:53]
	v_add_f64 v[54:55], v[66:67], -v[54:55]
	v_add_f64 v[66:67], v[50:51], v[48:49]
	v_add_f64 v[58:59], v[68:69], -v[58:59]
	v_add_f64 v[68:69], v[70:71], v[44:45]
	v_add_f64 v[70:71], v[64:65], v[46:47]
	v_add_f64 v[34:35], v[34:35], -v[36:37]
	v_add_f64 v[60:61], v[62:63], v[64:65]
	v_mul_f64 v[86:87], v[52:53], s[12:13]
	v_mul_f64 v[80:81], v[54:55], s[36:37]
	;; [unrolled: 1-line block ×7, first 2 shown]
	v_add_f64 v[50:51], v[60:61], v[50:51]
	v_mul_f64 v[58:59], v[58:59], s[26:27]
	v_mul_f64 v[84:85], v[54:55], s[38:39]
	;; [unrolled: 1-line block ×3, first 2 shown]
	v_fma_f64 v[92:93], v[68:69], s[4:5], v[62:63]
	v_mul_f64 v[54:55], v[54:55], s[28:29]
	v_fma_f64 v[62:63], v[68:69], s[4:5], -v[62:63]
	v_fma_f64 v[94:95], v[68:69], s[6:7], v[64:65]
	v_add_f64 v[50:51], v[50:51], v[32:33]
	v_fma_f64 v[64:65], v[68:69], s[6:7], -v[64:65]
	v_fma_f64 v[100:101], v[68:69], s[10:11], v[72:73]
	v_fma_f64 v[72:73], v[68:69], s[10:11], -v[72:73]
	v_fma_f64 v[102:103], v[68:69], s[16:17], v[78:79]
	;; [unrolled: 2-line block ×3, first 2 shown]
	v_fma_f64 v[58:59], v[68:69], s[24:25], -v[58:59]
	v_add_f64 v[50:51], v[50:51], v[16:17]
	v_fma_f64 v[68:69], v[70:71], s[6:7], v[80:81]
	v_add_f64 v[92:93], v[4:5], v[92:93]
	v_mul_f64 v[88:89], v[52:53], s[38:39]
	v_mul_f64 v[90:91], v[52:53], s[30:31]
	v_fma_f64 v[80:81], v[70:71], s[6:7], -v[80:81]
	v_fma_f64 v[106:107], v[70:71], s[16:17], v[82:83]
	v_fma_f64 v[82:83], v[70:71], s[16:17], -v[82:83]
	v_add_f64 v[50:51], v[50:51], v[18:19]
	v_fma_f64 v[108:109], v[70:71], s[24:25], v[84:85]
	v_fma_f64 v[84:85], v[70:71], s[24:25], -v[84:85]
	v_fma_f64 v[110:111], v[70:71], s[10:11], v[60:61]
	v_fma_f64 v[60:61], v[70:71], s[10:11], -v[60:61]
	;; [unrolled: 2-line block ×3, first 2 shown]
	v_fma_f64 v[70:71], v[66:67], s[10:11], v[86:87]
	v_add_f64 v[50:51], v[50:51], v[38:39]
	v_add_f64 v[62:63], v[4:5], v[62:63]
	;; [unrolled: 1-line block ×7, first 2 shown]
	v_fma_f64 v[86:87], v[66:67], s[10:11], -v[86:87]
	v_add_f64 v[48:49], v[50:51], v[48:49]
	v_add_f64 v[50:51], v[4:5], v[102:103]
	;; [unrolled: 1-line block ×5, first 2 shown]
	v_fma_f64 v[114:115], v[66:67], s[24:25], v[88:89]
	v_add_f64 v[62:63], v[80:81], v[62:63]
	v_add_f64 v[68:69], v[106:107], v[94:95]
	;; [unrolled: 1-line block ×5, first 2 shown]
	v_mul_f64 v[36:37], v[52:53], s[22:23]
	v_add_f64 v[72:73], v[84:85], v[72:73]
	v_add_f64 v[50:51], v[110:111], v[50:51]
	;; [unrolled: 1-line block ×6, first 2 shown]
	v_fma_f64 v[58:59], v[66:67], s[6:7], v[90:91]
	v_add_f64 v[62:63], v[114:115], v[68:69]
	v_mul_f64 v[52:53], v[52:53], s[18:19]
	v_fma_f64 v[68:69], v[66:67], s[6:7], -v[90:91]
	v_add_f64 v[32:33], v[32:33], v[38:39]
	v_mul_f64 v[38:39], v[34:35], s[18:19]
	v_fma_f64 v[70:71], v[66:67], s[4:5], v[36:37]
	v_fma_f64 v[88:89], v[66:67], s[24:25], -v[88:89]
	v_add_f64 v[58:59], v[58:59], v[64:65]
	v_mul_f64 v[64:65], v[34:35], s[34:35]
	v_fma_f64 v[36:37], v[66:67], s[4:5], -v[36:37]
	v_fma_f64 v[80:81], v[66:67], s[16:17], v[52:53]
	v_add_f64 v[68:69], v[68:69], v[72:73]
	v_fma_f64 v[52:53], v[66:67], s[16:17], -v[52:53]
	v_fma_f64 v[66:67], v[32:33], s[16:17], v[38:39]
	v_add_f64 v[50:51], v[70:71], v[50:51]
	v_fma_f64 v[38:39], v[32:33], s[16:17], -v[38:39]
	v_fma_f64 v[70:71], v[32:33], s[10:11], v[64:65]
	v_mul_f64 v[72:73], v[34:35], s[22:23]
	v_add_f64 v[60:61], v[60:61], v[78:79]
	v_add_f64 v[78:79], v[112:113], v[102:103]
	;; [unrolled: 1-line block ×4, first 2 shown]
	v_mul_f64 v[52:53], v[34:35], s[26:27]
	v_add_f64 v[38:39], v[38:39], v[54:55]
	v_add_f64 v[54:55], v[70:71], v[62:63]
	v_add_f64 v[20:21], v[20:21], -v[22:23]
	v_fma_f64 v[22:23], v[32:33], s[10:11], -v[64:65]
	v_fma_f64 v[62:63], v[32:33], s[4:5], v[72:73]
	v_mul_f64 v[34:35], v[34:35], s[30:31]
	v_add_f64 v[36:37], v[36:37], v[60:61]
	v_add_f64 v[60:61], v[80:81], v[78:79]
	;; [unrolled: 1-line block ×3, first 2 shown]
	v_fma_f64 v[66:67], v[32:33], s[24:25], v[52:53]
	v_fma_f64 v[52:53], v[32:33], s[24:25], -v[52:53]
	v_add_f64 v[16:17], v[16:17], v[18:19]
	v_mul_f64 v[18:19], v[20:21], s[26:27]
	v_add_f64 v[22:23], v[22:23], v[48:49]
	v_add_f64 v[48:49], v[62:63], v[58:59]
	v_fma_f64 v[58:59], v[32:33], s[6:7], v[34:35]
	v_fma_f64 v[64:65], v[32:33], s[4:5], -v[72:73]
	v_fma_f64 v[32:33], v[32:33], s[6:7], -v[34:35]
	v_add_f64 v[34:35], v[52:53], v[36:37]
	v_mul_f64 v[52:53], v[20:21], s[28:29]
	v_fma_f64 v[36:37], v[16:17], s[24:25], v[18:19]
	v_fma_f64 v[18:19], v[16:17], s[24:25], -v[18:19]
	v_add_f64 v[50:51], v[66:67], v[50:51]
	v_add_f64 v[58:59], v[58:59], v[60:61]
	v_mul_f64 v[60:61], v[20:21], s[18:19]
	v_add_f64 v[62:63], v[64:65], v[68:69]
	v_mul_f64 v[64:65], v[20:21], s[30:31]
	v_mul_f64 v[20:21], v[20:21], s[12:13]
	v_add_f64 v[32:33], v[32:33], v[4:5]
	v_add_f64 v[36:37], v[36:37], v[46:47]
	;; [unrolled: 1-line block ×3, first 2 shown]
	v_fma_f64 v[18:19], v[16:17], s[4:5], v[52:53]
	v_fma_f64 v[38:39], v[16:17], s[4:5], -v[52:53]
	v_fma_f64 v[46:47], v[16:17], s[16:17], v[60:61]
	v_fma_f64 v[52:53], v[16:17], s[6:7], v[64:65]
	v_fma_f64 v[64:65], v[16:17], s[6:7], -v[64:65]
	v_fma_f64 v[66:67], v[16:17], s[10:11], v[20:21]
	v_fma_f64 v[20:21], v[16:17], s[10:11], -v[20:21]
	v_fma_f64 v[60:61], v[16:17], s[16:17], -v[60:61]
	v_add_f64 v[54:55], v[18:19], v[54:55]
	v_add_f64 v[22:23], v[38:39], v[22:23]
	;; [unrolled: 1-line block ×8, first 2 shown]
	v_add_u32_e32 v32, 0x400, v98
	s_waitcnt lgkmcnt(0)
	s_barrier
	ds_write2_b64 v56, v[44:45], v[36:37] offset1:13
	ds_write2_b64 v56, v[54:55], v[38:39] offset0:26 offset1:39
	ds_write2_b64 v56, v[46:47], v[34:35] offset0:52 offset1:65
	;; [unrolled: 1-line block ×4, first 2 shown]
	ds_write_b64 v56, v[4:5] offset:1040
	s_waitcnt lgkmcnt(0)
	s_barrier
	ds_read2_b64 v[32:35], v32 offset0:15 offset1:158
	ds_read2_b64 v[36:39], v57 offset0:45 offset1:188
	ds_read_b64 v[44:45], v99
	ds_read_b64 v[46:47], v98 offset:5720
	s_and_saveexec_b64 s[4:5], s[0:1]
	s_cbranch_execz .LBB0_18
; %bb.17:
	v_add_u32_e32 v4, 0x800, v98
	ds_read2_b64 v[20:23], v4 offset0:108 offset1:251
	v_add_u32_e32 v4, 0x1400, v98
	ds_read2_b64 v[16:19], v98 offset0:78 offset1:221
	ds_read2_b64 v[4:7], v4 offset0:10 offset1:153
.LBB0_18:
	s_or_b64 exec, exec, s[4:5]
	s_and_saveexec_b64 s[4:5], vcc
	s_cbranch_execz .LBB0_21
; %bb.19:
	v_mul_u32_u24_e32 v48, 5, v96
	v_lshlrev_b32_e32 v48, 4, v48
	global_load_dwordx4 v[50:53], v48, s[8:9] offset:2096
	global_load_dwordx4 v[54:57], v48, s[8:9] offset:2128
	global_load_dwordx4 v[58:61], v48, s[8:9] offset:2080
	global_load_dwordx4 v[62:65], v48, s[8:9] offset:2112
	global_load_dwordx4 v[66:69], v48, s[8:9] offset:2144
	v_add_u32_e32 v84, 0x8f, v96
	v_mul_lo_u32 v82, s3, v76
	v_mul_lo_u32 v83, s2, v77
	v_mad_u64_u32 v[48:49], s[2:3], s2, v76, 0
	v_mad_u64_u32 v[70:71], s[6:7], s20, v96, 0
	v_lshlrev_b64 v[72:73], 4, v[74:75]
	v_add_u32_e32 v85, 0x11e, v96
	v_mad_u64_u32 v[74:75], s[6:7], s20, v84, 0
	v_add_u32_e32 v86, 0x1ad, v96
	v_mad_u64_u32 v[76:77], s[6:7], s20, v85, 0
	v_mad_u64_u32 v[78:79], s[6:7], s20, v86, 0
	v_add3_u32 v49, v49, v83, v82
	v_mad_u64_u32 v[82:83], s[6:7], s21, v96, v[71:72]
	v_mov_b32_e32 v71, v75
	v_lshlrev_b64 v[48:49], 4, v[48:49]
	v_mov_b32_e32 v75, v77
	v_mad_u64_u32 v[83:84], s[6:7], s21, v84, v[71:72]
	v_mov_b32_e32 v77, v79
	v_mad_u64_u32 v[84:85], s[6:7], s21, v85, v[75:76]
	;; [unrolled: 2-line block ×3, first 2 shown]
	v_add_co_u32_e32 v48, vcc, s14, v48
	v_addc_co_u32_e32 v49, vcc, v87, v49, vcc
	v_add_co_u32_e32 v48, vcc, v48, v72
	v_mov_b32_e32 v75, v83
	v_mov_b32_e32 v77, v84
	;; [unrolled: 1-line block ×3, first 2 shown]
	v_addc_co_u32_e32 v49, vcc, v49, v73, vcc
	v_mov_b32_e32 v71, v82
	v_lshlrev_b64 v[72:73], 4, v[74:75]
	v_lshlrev_b64 v[74:75], 4, v[76:77]
	;; [unrolled: 1-line block ×3, first 2 shown]
	s_mov_b32 s2, 0xe8584caa
	s_mov_b32 s3, 0x3febb67a
	;; [unrolled: 1-line block ×4, first 2 shown]
	v_lshlrev_b64 v[70:71], 4, v[70:71]
	v_add_u32_e32 v90, 0x23c, v96
	v_add_co_u32_e32 v70, vcc, v48, v70
	v_mad_u64_u32 v[80:81], s[6:7], s20, v90, 0
	v_addc_co_u32_e32 v71, vcc, v49, v71, vcc
	s_waitcnt vmcnt(4) lgkmcnt(3)
	v_mul_f64 v[78:79], v[34:35], v[52:53]
	s_waitcnt vmcnt(3) lgkmcnt(2)
	v_mul_f64 v[82:83], v[38:39], v[56:57]
	v_mul_f64 v[52:53], v[26:27], v[52:53]
	s_waitcnt vmcnt(1)
	v_mul_f64 v[86:87], v[36:37], v[64:65]
	s_waitcnt vmcnt(0) lgkmcnt(0)
	v_mul_f64 v[88:89], v[46:47], v[68:69]
	v_mul_f64 v[64:65], v[28:29], v[64:65]
	;; [unrolled: 1-line block ×6, first 2 shown]
	v_fma_f64 v[34:35], v[34:35], v[50:51], v[52:53]
	v_fma_f64 v[28:29], v[28:29], v[62:63], -v[86:87]
	v_fma_f64 v[42:43], v[42:43], v[66:67], -v[88:89]
	v_fma_f64 v[36:37], v[36:37], v[62:63], v[64:65]
	v_fma_f64 v[46:47], v[46:47], v[66:67], v[68:69]
	;; [unrolled: 1-line block ×3, first 2 shown]
	v_fma_f64 v[24:25], v[24:25], v[58:59], -v[84:85]
	v_fma_f64 v[32:33], v[32:33], v[58:59], v[60:61]
	v_fma_f64 v[26:27], v[26:27], v[50:51], -v[78:79]
	v_fma_f64 v[30:31], v[30:31], v[54:55], -v[82:83]
	v_add_f64 v[58:59], v[28:29], v[42:43]
	v_add_f64 v[62:63], v[28:29], -v[42:43]
	v_add_f64 v[56:57], v[36:37], v[46:47]
	v_add_f64 v[54:55], v[34:35], v[38:39]
	v_add_f64 v[60:61], v[36:37], -v[46:47]
	v_add_f64 v[36:37], v[32:33], v[36:37]
	;; [unrolled: 3-line block ×3, first 2 shown]
	v_add_f64 v[26:27], v[40:41], v[26:27]
	v_fma_f64 v[32:33], v[56:57], -0.5, v[32:33]
	v_fma_f64 v[56:57], v[58:59], -0.5, v[24:25]
	v_add_f64 v[24:25], v[24:25], v[28:29]
	v_fma_f64 v[28:29], v[54:55], -0.5, v[44:45]
	v_add_f64 v[36:37], v[36:37], v[46:47]
	v_add_f64 v[34:35], v[34:35], -v[38:39]
	v_fma_f64 v[40:41], v[66:67], -0.5, v[40:41]
	v_add_f64 v[38:39], v[64:65], v[38:39]
	v_fma_f64 v[44:45], v[62:63], s[2:3], v[32:33]
	v_fma_f64 v[46:47], v[60:61], s[2:3], v[56:57]
	;; [unrolled: 1-line block ×4, first 2 shown]
	v_add_f64 v[56:57], v[26:27], v[30:31]
	v_fma_f64 v[58:59], v[52:53], s[2:3], v[28:29]
	v_fma_f64 v[52:53], v[52:53], s[4:5], v[28:29]
	v_add_f64 v[42:43], v[24:25], v[42:43]
	v_mul_f64 v[28:29], v[44:45], -0.5
	v_mul_f64 v[30:31], v[46:47], s[4:5]
	v_mul_f64 v[62:63], v[32:33], s[2:3]
	v_mul_f64 v[60:61], v[54:55], -0.5
	v_fma_f64 v[64:65], v[34:35], s[4:5], v[40:41]
	v_fma_f64 v[40:41], v[34:35], s[2:3], v[40:41]
	v_add_f64 v[26:27], v[38:39], v[36:37]
	v_add_f64 v[24:25], v[56:57], v[42:43]
	v_fma_f64 v[54:55], v[54:55], s[4:5], v[28:29]
	v_fma_f64 v[66:67], v[32:33], 0.5, v[30:31]
	v_fma_f64 v[46:47], v[46:47], 0.5, v[62:63]
	v_fma_f64 v[44:45], v[44:45], s[2:3], v[60:61]
	v_add_f64 v[30:31], v[38:39], -v[36:37]
	v_add_co_u32_e32 v50, vcc, v48, v72
	v_addc_co_u32_e32 v51, vcc, v49, v73, vcc
	v_add_f64 v[38:39], v[52:53], v[66:67]
	v_add_f64 v[36:37], v[40:41], v[46:47]
	;; [unrolled: 1-line block ×4, first 2 shown]
	v_add_f64 v[28:29], v[56:57], -v[42:43]
	v_add_co_u32_e32 v60, vcc, v48, v74
	v_addc_co_u32_e32 v61, vcc, v49, v75, vcc
	global_store_dwordx4 v[70:71], v[24:27], off
	global_store_dwordx4 v[50:51], v[36:39], off
	;; [unrolled: 1-line block ×3, first 2 shown]
	v_add_u32_e32 v37, 0x2cb, v96
	v_mov_b32_e32 v34, v81
	v_mad_u64_u32 v[34:35], s[6:7], s21, v90, v[34:35]
	v_mad_u64_u32 v[35:36], s[6:7], s20, v37, 0
	v_add_f64 v[42:43], v[52:53], -v[66:67]
	v_add_f64 v[40:41], v[40:41], -v[46:47]
	v_add_co_u32_e32 v32, vcc, v48, v76
	v_addc_co_u32_e32 v33, vcc, v49, v77, vcc
	global_store_dwordx4 v[32:33], v[28:31], off
	v_mov_b32_e32 v81, v34
	v_mov_b32_e32 v30, v36
	v_mad_u64_u32 v[30:31], s[6:7], s21, v37, v[30:31]
	v_add_f64 v[26:27], v[58:59], -v[54:55]
	v_add_f64 v[24:25], v[64:65], -v[44:45]
	v_lshlrev_b64 v[28:29], 4, v[80:81]
	v_mov_b32_e32 v36, v30
	v_add_co_u32_e32 v28, vcc, v48, v28
	v_addc_co_u32_e32 v29, vcc, v49, v29, vcc
	global_store_dwordx4 v[28:29], v[40:43], off
	v_lshlrev_b64 v[28:29], 4, v[35:36]
	v_add_co_u32_e32 v28, vcc, v48, v28
	v_addc_co_u32_e32 v29, vcc, v49, v29, vcc
	global_store_dwordx4 v[28:29], v[24:27], off
	s_and_b64 exec, exec, s[0:1]
	s_cbranch_execz .LBB0_21
; %bb.20:
	v_add_u32_e32 v58, 0x4e, v96
	v_add_u32_e32 v24, 0xffffffbf, v96
	v_cndmask_b32_e64 v24, v24, v58, s[0:1]
	v_mul_i32_i24_e32 v24, 5, v24
	v_mov_b32_e32 v25, 0
	v_lshlrev_b64 v[24:25], 4, v[24:25]
	v_mov_b32_e32 v26, s9
	v_add_co_u32_e32 v44, vcc, s8, v24
	v_addc_co_u32_e32 v45, vcc, v26, v25, vcc
	global_load_dwordx4 v[24:27], v[44:45], off offset:2080
	global_load_dwordx4 v[28:31], v[44:45], off offset:2096
	global_load_dwordx4 v[32:35], v[44:45], off offset:2112
	global_load_dwordx4 v[36:39], v[44:45], off offset:2128
	global_load_dwordx4 v[40:43], v[44:45], off offset:2144
	v_add_u32_e32 v60, 0xdd, v96
	v_mad_u64_u32 v[44:45], s[0:1], s20, v58, 0
	v_mad_u64_u32 v[46:47], s[0:1], s20, v60, 0
	v_add_u32_e32 v61, 0x16c, v96
	v_add_u32_e32 v62, 0x1fb, v96
	;; [unrolled: 1-line block ×3, first 2 shown]
	v_mad_u64_u32 v[50:51], s[0:1], s20, v61, 0
	v_mad_u64_u32 v[52:53], s[0:1], s20, v62, 0
	v_add_u32_e32 v64, 0x319, v96
	v_mad_u64_u32 v[54:55], s[0:1], s20, v63, 0
	v_mad_u64_u32 v[56:57], s[0:1], s20, v64, 0
	;; [unrolled: 1-line block ×7, first 2 shown]
	v_mov_b32_e32 v53, v61
	v_mad_u64_u32 v[63:64], s[0:1], s21, v64, v[57:58]
	v_mov_b32_e32 v55, v62
	v_mov_b32_e32 v45, v58
	;; [unrolled: 1-line block ×4, first 2 shown]
	v_lshlrev_b64 v[44:45], 4, v[44:45]
	v_lshlrev_b64 v[46:47], 4, v[46:47]
	v_add_co_u32_e32 v44, vcc, v48, v44
	v_addc_co_u32_e32 v45, vcc, v49, v45, vcc
	v_lshlrev_b64 v[50:51], 4, v[50:51]
	v_add_co_u32_e32 v46, vcc, v48, v46
	v_addc_co_u32_e32 v47, vcc, v49, v47, vcc
	v_lshlrev_b64 v[52:53], 4, v[52:53]
	v_lshlrev_b64 v[54:55], 4, v[54:55]
	s_waitcnt vmcnt(4)
	v_mul_f64 v[57:58], v[18:19], v[26:27]
	v_mul_f64 v[26:27], v[10:11], v[26:27]
	s_waitcnt vmcnt(2)
	v_mul_f64 v[61:62], v[22:23], v[34:35]
	v_mul_f64 v[34:35], v[14:15], v[34:35]
	;; [unrolled: 3-line block ×3, first 2 shown]
	v_mul_f64 v[59:60], v[20:21], v[30:31]
	v_mul_f64 v[30:31], v[12:13], v[30:31]
	;; [unrolled: 1-line block ×4, first 2 shown]
	v_fma_f64 v[14:15], v[14:15], v[32:33], -v[61:62]
	v_fma_f64 v[22:23], v[22:23], v[32:33], v[34:35]
	v_fma_f64 v[2:3], v[2:3], v[40:41], -v[66:67]
	v_fma_f64 v[6:7], v[6:7], v[40:41], v[42:43]
	;; [unrolled: 2-line block ×5, first 2 shown]
	v_add_f64 v[32:33], v[14:15], v[2:3]
	v_add_f64 v[30:31], v[22:23], v[6:7]
	;; [unrolled: 1-line block ×5, first 2 shown]
	v_add_f64 v[34:35], v[20:21], -v[4:5]
	v_add_f64 v[20:21], v[20:21], v[4:5]
	v_add_f64 v[38:39], v[22:23], -v[6:7]
	v_add_f64 v[40:41], v[14:15], -v[2:3]
	v_fma_f64 v[30:31], v[30:31], -0.5, v[18:19]
	v_fma_f64 v[32:33], v[32:33], -0.5, v[10:11]
	v_add_f64 v[12:13], v[12:13], -v[0:1]
	v_add_f64 v[10:11], v[10:11], v[14:15]
	v_add_f64 v[14:15], v[18:19], v[22:23]
	;; [unrolled: 1-line block ×3, first 2 shown]
	v_fma_f64 v[0:1], v[26:27], -0.5, v[8:9]
	v_add_f64 v[22:23], v[36:37], v[4:5]
	v_fma_f64 v[4:5], v[20:21], -0.5, v[16:17]
	v_fma_f64 v[8:9], v[40:41], s[4:5], v[30:31]
	v_fma_f64 v[16:17], v[38:39], s[4:5], v[32:33]
	;; [unrolled: 1-line block ×4, first 2 shown]
	v_add_f64 v[6:7], v[14:15], v[6:7]
	v_fma_f64 v[26:27], v[34:35], s[2:3], v[0:1]
	v_fma_f64 v[30:31], v[34:35], s[4:5], v[0:1]
	v_add_f64 v[10:11], v[10:11], v[2:3]
	v_mul_f64 v[14:15], v[8:9], s[2:3]
	v_mul_f64 v[32:33], v[16:17], -0.5
	v_mul_f64 v[34:35], v[20:21], s[4:5]
	v_mul_f64 v[36:37], v[24:25], -0.5
	v_fma_f64 v[38:39], v[12:13], s[4:5], v[4:5]
	v_fma_f64 v[40:41], v[12:13], s[2:3], v[4:5]
	v_add_f64 v[2:3], v[22:23], v[6:7]
	v_add_f64 v[0:1], v[18:19], v[10:11]
	v_fma_f64 v[20:21], v[20:21], 0.5, v[14:15]
	v_fma_f64 v[24:25], v[24:25], s[2:3], v[32:33]
	v_fma_f64 v[32:33], v[8:9], 0.5, v[34:35]
	v_fma_f64 v[34:35], v[16:17], s[4:5], v[36:37]
	v_add_f64 v[4:5], v[18:19], -v[10:11]
	v_add_f64 v[6:7], v[22:23], -v[6:7]
	v_add_co_u32_e32 v28, vcc, v48, v50
	v_add_f64 v[8:9], v[26:27], v[20:21]
	v_add_f64 v[12:13], v[30:31], v[24:25]
	;; [unrolled: 1-line block ×4, first 2 shown]
	global_store_dwordx4 v[44:45], v[0:3], off
	v_addc_co_u32_e32 v29, vcc, v49, v51, vcc
	v_add_f64 v[0:1], v[26:27], -v[20:21]
	v_add_f64 v[2:3], v[38:39], -v[32:33]
	v_add_co_u32_e32 v36, vcc, v48, v52
	v_add_f64 v[16:17], v[30:31], -v[24:25]
	v_add_f64 v[18:19], v[40:41], -v[34:35]
	v_addc_co_u32_e32 v37, vcc, v49, v53, vcc
	global_store_dwordx4 v[46:47], v[8:11], off
	global_store_dwordx4 v[28:29], v[12:15], off
	;; [unrolled: 1-line block ×3, first 2 shown]
	v_mov_b32_e32 v57, v63
	v_add_co_u32_e32 v4, vcc, v48, v54
	v_addc_co_u32_e32 v5, vcc, v49, v55, vcc
	global_store_dwordx4 v[4:5], v[0:3], off
	s_nop 0
	v_lshlrev_b64 v[0:1], 4, v[56:57]
	v_add_co_u32_e32 v0, vcc, v48, v0
	v_addc_co_u32_e32 v1, vcc, v49, v1, vcc
	global_store_dwordx4 v[0:1], v[16:19], off
.LBB0_21:
	s_endpgm
	.section	.rodata,"a",@progbits
	.p2align	6, 0x0
	.amdhsa_kernel fft_rtc_fwd_len858_factors_13_11_6_wgs_234_tpt_78_halfLds_dp_op_CI_CI_sbrr_dirReg
		.amdhsa_group_segment_fixed_size 0
		.amdhsa_private_segment_fixed_size 0
		.amdhsa_kernarg_size 104
		.amdhsa_user_sgpr_count 6
		.amdhsa_user_sgpr_private_segment_buffer 1
		.amdhsa_user_sgpr_dispatch_ptr 0
		.amdhsa_user_sgpr_queue_ptr 0
		.amdhsa_user_sgpr_kernarg_segment_ptr 1
		.amdhsa_user_sgpr_dispatch_id 0
		.amdhsa_user_sgpr_flat_scratch_init 0
		.amdhsa_user_sgpr_private_segment_size 0
		.amdhsa_uses_dynamic_stack 0
		.amdhsa_system_sgpr_private_segment_wavefront_offset 0
		.amdhsa_system_sgpr_workgroup_id_x 1
		.amdhsa_system_sgpr_workgroup_id_y 0
		.amdhsa_system_sgpr_workgroup_id_z 0
		.amdhsa_system_sgpr_workgroup_info 0
		.amdhsa_system_vgpr_workitem_id 0
		.amdhsa_next_free_vgpr 126
		.amdhsa_next_free_sgpr 46
		.amdhsa_reserve_vcc 1
		.amdhsa_reserve_flat_scratch 0
		.amdhsa_float_round_mode_32 0
		.amdhsa_float_round_mode_16_64 0
		.amdhsa_float_denorm_mode_32 3
		.amdhsa_float_denorm_mode_16_64 3
		.amdhsa_dx10_clamp 1
		.amdhsa_ieee_mode 1
		.amdhsa_fp16_overflow 0
		.amdhsa_exception_fp_ieee_invalid_op 0
		.amdhsa_exception_fp_denorm_src 0
		.amdhsa_exception_fp_ieee_div_zero 0
		.amdhsa_exception_fp_ieee_overflow 0
		.amdhsa_exception_fp_ieee_underflow 0
		.amdhsa_exception_fp_ieee_inexact 0
		.amdhsa_exception_int_div_zero 0
	.end_amdhsa_kernel
	.text
.Lfunc_end0:
	.size	fft_rtc_fwd_len858_factors_13_11_6_wgs_234_tpt_78_halfLds_dp_op_CI_CI_sbrr_dirReg, .Lfunc_end0-fft_rtc_fwd_len858_factors_13_11_6_wgs_234_tpt_78_halfLds_dp_op_CI_CI_sbrr_dirReg
                                        ; -- End function
	.section	.AMDGPU.csdata,"",@progbits
; Kernel info:
; codeLenInByte = 11716
; NumSgprs: 50
; NumVgprs: 126
; ScratchSize: 0
; MemoryBound: 1
; FloatMode: 240
; IeeeMode: 1
; LDSByteSize: 0 bytes/workgroup (compile time only)
; SGPRBlocks: 6
; VGPRBlocks: 31
; NumSGPRsForWavesPerEU: 50
; NumVGPRsForWavesPerEU: 126
; Occupancy: 2
; WaveLimiterHint : 1
; COMPUTE_PGM_RSRC2:SCRATCH_EN: 0
; COMPUTE_PGM_RSRC2:USER_SGPR: 6
; COMPUTE_PGM_RSRC2:TRAP_HANDLER: 0
; COMPUTE_PGM_RSRC2:TGID_X_EN: 1
; COMPUTE_PGM_RSRC2:TGID_Y_EN: 0
; COMPUTE_PGM_RSRC2:TGID_Z_EN: 0
; COMPUTE_PGM_RSRC2:TIDIG_COMP_CNT: 0
	.type	__hip_cuid_589ac24095e59242,@object ; @__hip_cuid_589ac24095e59242
	.section	.bss,"aw",@nobits
	.globl	__hip_cuid_589ac24095e59242
__hip_cuid_589ac24095e59242:
	.byte	0                               ; 0x0
	.size	__hip_cuid_589ac24095e59242, 1

	.ident	"AMD clang version 19.0.0git (https://github.com/RadeonOpenCompute/llvm-project roc-6.4.0 25133 c7fe45cf4b819c5991fe208aaa96edf142730f1d)"
	.section	".note.GNU-stack","",@progbits
	.addrsig
	.addrsig_sym __hip_cuid_589ac24095e59242
	.amdgpu_metadata
---
amdhsa.kernels:
  - .args:
      - .actual_access:  read_only
        .address_space:  global
        .offset:         0
        .size:           8
        .value_kind:     global_buffer
      - .offset:         8
        .size:           8
        .value_kind:     by_value
      - .actual_access:  read_only
        .address_space:  global
        .offset:         16
        .size:           8
        .value_kind:     global_buffer
      - .actual_access:  read_only
        .address_space:  global
        .offset:         24
        .size:           8
        .value_kind:     global_buffer
      - .actual_access:  read_only
        .address_space:  global
        .offset:         32
        .size:           8
        .value_kind:     global_buffer
      - .offset:         40
        .size:           8
        .value_kind:     by_value
      - .actual_access:  read_only
        .address_space:  global
        .offset:         48
        .size:           8
        .value_kind:     global_buffer
      - .actual_access:  read_only
        .address_space:  global
        .offset:         56
        .size:           8
        .value_kind:     global_buffer
      - .offset:         64
        .size:           4
        .value_kind:     by_value
      - .actual_access:  read_only
        .address_space:  global
        .offset:         72
        .size:           8
        .value_kind:     global_buffer
      - .actual_access:  read_only
        .address_space:  global
        .offset:         80
        .size:           8
        .value_kind:     global_buffer
      - .actual_access:  read_only
        .address_space:  global
        .offset:         88
        .size:           8
        .value_kind:     global_buffer
      - .actual_access:  write_only
        .address_space:  global
        .offset:         96
        .size:           8
        .value_kind:     global_buffer
    .group_segment_fixed_size: 0
    .kernarg_segment_align: 8
    .kernarg_segment_size: 104
    .language:       OpenCL C
    .language_version:
      - 2
      - 0
    .max_flat_workgroup_size: 234
    .name:           fft_rtc_fwd_len858_factors_13_11_6_wgs_234_tpt_78_halfLds_dp_op_CI_CI_sbrr_dirReg
    .private_segment_fixed_size: 0
    .sgpr_count:     50
    .sgpr_spill_count: 0
    .symbol:         fft_rtc_fwd_len858_factors_13_11_6_wgs_234_tpt_78_halfLds_dp_op_CI_CI_sbrr_dirReg.kd
    .uniform_work_group_size: 1
    .uses_dynamic_stack: false
    .vgpr_count:     126
    .vgpr_spill_count: 0
    .wavefront_size: 64
amdhsa.target:   amdgcn-amd-amdhsa--gfx906
amdhsa.version:
  - 1
  - 2
...

	.end_amdgpu_metadata
